;; amdgpu-corpus repo=ROCm/rocFFT kind=compiled arch=gfx950 opt=O3
	.text
	.amdgcn_target "amdgcn-amd-amdhsa--gfx950"
	.amdhsa_code_object_version 6
	.protected	bluestein_single_fwd_len2025_dim1_dp_op_CI_CI ; -- Begin function bluestein_single_fwd_len2025_dim1_dp_op_CI_CI
	.globl	bluestein_single_fwd_len2025_dim1_dp_op_CI_CI
	.p2align	8
	.type	bluestein_single_fwd_len2025_dim1_dp_op_CI_CI,@function
bluestein_single_fwd_len2025_dim1_dp_op_CI_CI: ; @bluestein_single_fwd_len2025_dim1_dp_op_CI_CI
; %bb.0:
	s_load_dwordx4 s[12:15], s[0:1], 0x28
	v_mul_u32_u24_e32 v1, 0x1e6, v0
	v_add_u32_sdwa v156, s2, v1 dst_sel:DWORD dst_unused:UNUSED_PAD src0_sel:DWORD src1_sel:WORD_1
	v_mov_b32_e32 v157, 0
	s_waitcnt lgkmcnt(0)
	v_cmp_gt_u64_e32 vcc, s[12:13], v[156:157]
	s_and_saveexec_b64 s[2:3], vcc
	s_cbranch_execz .LBB0_2
; %bb.1:
	s_load_dwordx4 s[4:7], s[0:1], 0x0
	s_load_dwordx4 s[8:11], s[0:1], 0x18
	s_load_dwordx2 s[2:3], s[0:1], 0x38
	v_mov_b32_e32 v2, s14
	v_mov_b32_e32 v3, s15
	;; [unrolled: 1-line block ×3, first 2 shown]
	s_movk_i32 s20, 0x2000
	s_waitcnt lgkmcnt(0)
	v_mov_b32_e32 v4, s2
	v_mov_b32_e32 v5, s3
	s_load_dwordx4 s[0:3], s[10:11], 0x0
	v_accvgpr_write_b32 a0, v4
	v_accvgpr_write_b32 a1, v5
	v_mov_b32_e32 v20, 0xffffb410
	s_movk_i32 s18, 0x1000
	s_waitcnt lgkmcnt(0)
	v_mad_u64_u32 v[6:7], s[10:11], s2, v156, 0
	s_load_dwordx4 s[8:11], s[8:9], 0x0
	v_mov_b32_e32 v4, v7
	v_mad_u64_u32 v[4:5], s[2:3], s3, v156, v[4:5]
	v_mov_b32_e32 v7, v4
	v_accvgpr_write_b32 a2, v6
	s_waitcnt lgkmcnt(0)
	v_mad_u64_u32 v[4:5], s[2:3], s10, v156, 0
	v_accvgpr_write_b32 a3, v7
	v_mov_b32_e32 v6, v5
	v_mad_u64_u32 v[6:7], s[2:3], s11, v156, v[6:7]
	s_movk_i32 s2, 0x87
	s_nop 0
	v_mul_lo_u16_sdwa v1, v1, s2 dst_sel:DWORD dst_unused:UNUSED_PAD src0_sel:WORD_1 src1_sel:DWORD
	v_sub_u16_e32 v112, v0, v1
	s_mov_b32 s2, 0
	v_mov_b32_e32 v113, s2
	v_mad_u64_u32 v[0:1], s[2:3], s8, v112, 0
	v_mov_b32_e32 v5, v6
	v_mov_b32_e32 v6, v1
	v_mad_u64_u32 v[6:7], s[2:3], s9, v112, v[6:7]
	v_mov_b32_e32 v1, v6
	v_lshl_add_u64 v[2:3], v[4:5], 4, v[2:3]
	v_lshl_add_u64 v[8:9], v[0:1], 4, v[2:3]
	v_lshlrev_b32_e32 v156, 4, v112
	global_load_dwordx4 v[0:3], v[8:9], off
	global_load_dwordx4 v[10:13], v156, s[4:5]
	v_lshl_add_u64 v[64:65], s[4:5], 0, v[156:157]
	s_mov_b32 s17, 0xbfee6f0e
	s_mov_b32 s12, 0x372fe950
	;; [unrolled: 1-line block ×4, first 2 shown]
	s_movk_i32 s19, 0x6d
	s_movk_i32 s22, 0xffa6
	s_mov_b32 s23, -1
	s_waitcnt vmcnt(0)
	v_accvgpr_write_b32 a8, v10
	v_mul_f64 v[4:5], v[2:3], v[12:13]
	v_fmac_f64_e32 v[4:5], v[0:1], v[10:11]
	v_mul_f64 v[0:1], v[0:1], v[12:13]
	v_fma_f64 v[6:7], v[2:3], v[10:11], -v[0:1]
	v_accvgpr_write_b32 a9, v11
	v_accvgpr_write_b32 a10, v12
	;; [unrolled: 1-line block ×3, first 2 shown]
	v_mad_u64_u32 v[10:11], s[2:3], s8, v158, v[8:9]
	s_mul_i32 s2, s9, 0x2a30
	v_add_co_u32_e32 v0, vcc, s20, v64
	v_add_u32_e32 v11, s2, v11
	s_nop 0
	v_addc_co_u32_e32 v1, vcc, 0, v65, vcc
	ds_write_b128 v156, v[4:7]
	global_load_dwordx4 v[2:5], v[10:11], off
	global_load_dwordx4 v[12:15], v[0:1], off offset:2608
	s_movk_i32 s3, 0x5000
	v_mad_u64_u32 v[10:11], s[10:11], s8, v158, v[10:11]
	v_add_u32_e32 v11, s2, v11
	s_mov_b64 s[10:11], 0x87
	v_lshl_add_u64 v[120:121], v[112:113], 0, s[10:11]
	s_waitcnt vmcnt(0)
	v_accvgpr_write_b32 a19, v15
	v_mul_f64 v[6:7], v[4:5], v[14:15]
	v_fmac_f64_e32 v[6:7], v[2:3], v[12:13]
	v_mul_f64 v[2:3], v[2:3], v[14:15]
	v_fma_f64 v[8:9], v[4:5], v[12:13], -v[2:3]
	v_accvgpr_write_b32 a18, v14
	v_accvgpr_write_b32 a17, v13
	;; [unrolled: 1-line block ×3, first 2 shown]
	v_add_co_u32_e32 v12, vcc, s3, v64
	global_load_dwordx4 v[2:5], v[10:11], off
	s_nop 0
	v_addc_co_u32_e32 v13, vcc, 0, v65, vcc
	global_load_dwordx4 v[14:17], v[12:13], off offset:1120
	ds_write_b128 v156, v[6:9] offset:10800
	s_mul_i32 s3, s9, 0xffffb410
	s_sub_i32 s3, s3, s8
	s_waitcnt vmcnt(0)
	v_mul_f64 v[6:7], v[4:5], v[16:17]
	v_fmac_f64_e32 v[6:7], v[2:3], v[14:15]
	v_mul_f64 v[2:3], v[2:3], v[16:17]
	v_fma_f64 v[8:9], v[4:5], v[14:15], -v[2:3]
	v_mov_b32_e32 v2, 0xffffb410
	v_mad_u64_u32 v[10:11], s[10:11], s8, v2, v[10:11]
	v_accvgpr_write_b32 a31, v17
	ds_write_b128 v156, v[6:9] offset:21600
	v_add_u32_e32 v11, s3, v11
	v_accvgpr_write_b32 a30, v16
	v_accvgpr_write_b32 a29, v15
	v_accvgpr_write_b32 a28, v14
	global_load_dwordx4 v[2:5], v[10:11], off
	global_load_dwordx4 v[14:17], v156, s[4:5] offset:2160
	v_mad_u64_u32 v[10:11], s[4:5], s8, v158, v[10:11]
	s_movk_i32 s4, 0x3000
	v_add_u32_e32 v11, s2, v11
	s_mov_b32 s10, 0x4755a5e
	s_mov_b32 s11, 0x3fe2cf23
	s_mov_b32 s14, s10
	s_waitcnt vmcnt(0)
	v_mul_f64 v[6:7], v[4:5], v[16:17]
	v_fmac_f64_e32 v[6:7], v[2:3], v[14:15]
	v_mul_f64 v[2:3], v[2:3], v[16:17]
	v_accvgpr_write_b32 a12, v14
	v_fma_f64 v[8:9], v[4:5], v[14:15], -v[2:3]
	v_accvgpr_write_b32 a13, v15
	v_accvgpr_write_b32 a14, v16
	;; [unrolled: 1-line block ×3, first 2 shown]
	v_add_co_u32_e32 v14, vcc, s4, v64
	global_load_dwordx4 v[2:5], v[10:11], off
	s_nop 0
	v_addc_co_u32_e32 v15, vcc, 0, v65, vcc
	global_load_dwordx4 v[16:19], v[14:15], off offset:672
	ds_write_b128 v156, v[6:9] offset:2160
	v_mad_u64_u32 v[10:11], s[4:5], s8, v158, v[10:11]
	v_add_u32_e32 v11, s2, v11
	s_mov_b64 s[4:5], 0x10e
	v_lshl_add_u64 v[122:123], v[112:113], 0, s[4:5]
	s_waitcnt vmcnt(0)
	v_mul_f64 v[6:7], v[4:5], v[18:19]
	v_fmac_f64_e32 v[6:7], v[2:3], v[16:17]
	v_mul_f64 v[2:3], v[2:3], v[18:19]
	v_fma_f64 v[8:9], v[4:5], v[16:17], -v[2:3]
	v_accvgpr_write_b32 a27, v19
	ds_write_b128 v156, v[6:9] offset:12960
	v_accvgpr_write_b32 a26, v18
	v_accvgpr_write_b32 a25, v17
	v_accvgpr_write_b32 a24, v16
	global_load_dwordx4 v[2:5], v[10:11], off
	global_load_dwordx4 v[16:19], v[12:13], off offset:3280
	v_mad_u64_u32 v[10:11], s[4:5], s8, v20, v[10:11]
	v_add_co_u32_e32 v12, vcc, s18, v64
	v_add_u32_e32 v11, s3, v11
	s_nop 0
	v_addc_co_u32_e32 v13, vcc, 0, v65, vcc
	s_waitcnt vmcnt(0)
	v_mul_f64 v[6:7], v[4:5], v[18:19]
	v_fmac_f64_e32 v[6:7], v[2:3], v[16:17]
	v_mul_f64 v[2:3], v[2:3], v[18:19]
	v_accvgpr_write_b32 a23, v19
	v_fma_f64 v[8:9], v[4:5], v[16:17], -v[2:3]
	v_accvgpr_write_b32 a22, v18
	v_accvgpr_write_b32 a21, v17
	;; [unrolled: 1-line block ×3, first 2 shown]
	global_load_dwordx4 v[2:5], v[10:11], off
	global_load_dwordx4 v[16:19], v[12:13], off offset:224
	ds_write_b128 v156, v[6:9] offset:23760
	v_mad_u64_u32 v[10:11], s[4:5], s8, v158, v[10:11]
	v_add_u32_e32 v11, s2, v11
	s_waitcnt vmcnt(0)
	v_mul_f64 v[6:7], v[4:5], v[18:19]
	v_fmac_f64_e32 v[6:7], v[2:3], v[16:17]
	v_mul_f64 v[2:3], v[2:3], v[18:19]
	v_fma_f64 v[8:9], v[4:5], v[16:17], -v[2:3]
	v_accvgpr_write_b32 a43, v19
	ds_write_b128 v156, v[6:9] offset:4320
	v_accvgpr_write_b32 a42, v18
	v_accvgpr_write_b32 a41, v17
	;; [unrolled: 1-line block ×3, first 2 shown]
	global_load_dwordx4 v[2:5], v[10:11], off
	global_load_dwordx4 v[16:19], v[14:15], off offset:2832
	v_mad_u64_u32 v[10:11], s[4:5], s8, v158, v[10:11]
	s_movk_i32 s4, 0x6000
	s_nop 0
	v_add_co_u32_e32 v14, vcc, s4, v64
	v_add_u32_e32 v11, s2, v11
	s_nop 0
	v_addc_co_u32_e32 v15, vcc, 0, v65, vcc
	s_mov_b64 s[4:5], 0x195
	v_lshl_add_u64 v[128:129], v[112:113], 0, s[4:5]
	s_waitcnt vmcnt(0)
	v_mul_f64 v[6:7], v[4:5], v[18:19]
	v_fmac_f64_e32 v[6:7], v[2:3], v[16:17]
	v_mul_f64 v[2:3], v[2:3], v[18:19]
	v_accvgpr_write_b32 a47, v19
	v_fma_f64 v[8:9], v[4:5], v[16:17], -v[2:3]
	v_accvgpr_write_b32 a46, v18
	v_accvgpr_write_b32 a45, v17
	;; [unrolled: 1-line block ×3, first 2 shown]
	global_load_dwordx4 v[2:5], v[10:11], off
	global_load_dwordx4 v[16:19], v[14:15], off offset:1344
	ds_write_b128 v156, v[6:9] offset:15120
	v_mad_u64_u32 v[10:11], s[4:5], s8, v20, v[10:11]
	v_add_u32_e32 v11, s3, v11
	s_waitcnt vmcnt(0)
	v_mul_f64 v[6:7], v[4:5], v[18:19]
	v_fmac_f64_e32 v[6:7], v[2:3], v[16:17]
	v_mul_f64 v[2:3], v[2:3], v[18:19]
	v_fma_f64 v[8:9], v[4:5], v[16:17], -v[2:3]
	v_accvgpr_write_b32 a51, v19
	ds_write_b128 v156, v[6:9] offset:25920
	v_accvgpr_write_b32 a50, v18
	v_accvgpr_write_b32 a49, v17
	;; [unrolled: 1-line block ×3, first 2 shown]
	global_load_dwordx4 v[2:5], v[10:11], off
	global_load_dwordx4 v[16:19], v[12:13], off offset:2384
	v_mad_u64_u32 v[12:13], s[4:5], s8, v158, v[10:11]
	s_movk_i32 s4, 0x4000
	v_add_u32_e32 v13, s2, v13
	s_waitcnt vmcnt(0)
	v_mul_f64 v[6:7], v[4:5], v[18:19]
	v_fmac_f64_e32 v[6:7], v[2:3], v[16:17]
	v_mul_f64 v[2:3], v[2:3], v[18:19]
	v_fma_f64 v[8:9], v[4:5], v[16:17], -v[2:3]
	v_add_co_u32_e32 v2, vcc, s4, v64
	v_accvgpr_write_b32 a55, v19
	s_nop 0
	v_addc_co_u32_e32 v3, vcc, 0, v65, vcc
	v_accvgpr_write_b32 a54, v18
	v_accvgpr_write_b32 a53, v17
	;; [unrolled: 1-line block ×3, first 2 shown]
	ds_write_b128 v156, v[6:9] offset:6480
	global_load_dwordx4 v[4:7], v[12:13], off
	global_load_dwordx4 v[16:19], v[2:3], off offset:896
	v_mad_u64_u32 v[12:13], s[4:5], s8, v158, v[12:13]
	v_add_u32_e32 v13, s2, v13
	s_mov_b64 s[4:5], 0x21c
	v_lshl_add_u64 v[138:139], v[112:113], 0, s[4:5]
	s_waitcnt vmcnt(0)
	v_mul_f64 v[8:9], v[6:7], v[18:19]
	v_fmac_f64_e32 v[8:9], v[4:5], v[16:17]
	v_mul_f64 v[4:5], v[4:5], v[18:19]
	v_fma_f64 v[10:11], v[6:7], v[16:17], -v[4:5]
	v_accvgpr_write_b32 a59, v19
	ds_write_b128 v156, v[8:11] offset:17280
	v_accvgpr_write_b32 a58, v18
	v_accvgpr_write_b32 a57, v17
	;; [unrolled: 1-line block ×3, first 2 shown]
	global_load_dwordx4 v[4:7], v[12:13], off
	global_load_dwordx4 v[16:19], v[14:15], off offset:3504
	s_waitcnt vmcnt(0)
	v_mul_f64 v[8:9], v[6:7], v[18:19]
	v_fmac_f64_e32 v[8:9], v[4:5], v[16:17]
	v_mul_f64 v[4:5], v[4:5], v[18:19]
	v_fma_f64 v[10:11], v[6:7], v[16:17], -v[4:5]
	v_mad_u64_u32 v[4:5], s[4:5], s8, v20, v[12:13]
	v_accvgpr_write_b32 a63, v19
	ds_write_b128 v156, v[8:11] offset:28080
	v_add_u32_e32 v5, s3, v5
	v_accvgpr_write_b32 a62, v18
	v_accvgpr_write_b32 a61, v17
	;; [unrolled: 1-line block ×3, first 2 shown]
	global_load_dwordx4 v[6:9], v[4:5], off
	global_load_dwordx4 v[14:17], v[0:1], off offset:448
	s_waitcnt vmcnt(0)
	v_mul_f64 v[10:11], v[8:9], v[16:17]
	v_mul_f64 v[0:1], v[6:7], v[16:17]
	v_fmac_f64_e32 v[10:11], v[6:7], v[14:15]
	v_fma_f64 v[12:13], v[8:9], v[14:15], -v[0:1]
	v_mad_u64_u32 v[8:9], s[4:5], s8, v158, v[4:5]
	ds_write_b128 v156, v[10:13] offset:8640
	v_add_u32_e32 v9, s2, v9
	global_load_dwordx4 v[4:7], v[8:9], off
	global_load_dwordx4 v[10:13], v[2:3], off offset:3056
	v_accvgpr_write_b32 a35, v17
	v_accvgpr_write_b32 a34, v16
	;; [unrolled: 1-line block ×4, first 2 shown]
	s_waitcnt vmcnt(0)
	v_mul_f64 v[0:1], v[6:7], v[12:13]
	v_mul_f64 v[2:3], v[4:5], v[12:13]
	v_fmac_f64_e32 v[0:1], v[4:5], v[10:11]
	v_fma_f64 v[2:3], v[6:7], v[10:11], -v[2:3]
	ds_write_b128 v156, v[0:3] offset:19440
	v_mad_u64_u32 v[0:1], s[4:5], s8, v158, v[8:9]
	v_add_u32_e32 v1, s2, v1
	s_movk_i32 s2, 0x7000
	v_add_co_u32_e32 v66, vcc, s2, v64
	global_load_dwordx4 v[0:3], v[0:1], off
	s_nop 0
	v_addc_co_u32_e32 v67, vcc, 0, v65, vcc
	global_load_dwordx4 v[4:7], v[66:67], off offset:1568
	v_accvgpr_write_b32 a4, v10
	v_accvgpr_write_b32 a5, v11
	;; [unrolled: 1-line block ×4, first 2 shown]
	s_mov_b32 s2, 0xe8584caa
	s_mov_b32 s3, 0x3febb67a
	;; [unrolled: 1-line block ×4, first 2 shown]
	s_movk_i32 s8, 0xab
	s_waitcnt vmcnt(0)
	v_mov_b64_e32 v[8:9], v[6:7]
	v_mov_b64_e32 v[6:7], v[4:5]
	v_mul_f64 v[4:5], v[2:3], v[8:9]
	v_fmac_f64_e32 v[4:5], v[0:1], v[6:7]
	v_mul_f64 v[0:1], v[0:1], v[8:9]
	v_mov_b64_e32 v[10:11], v[8:9]
	v_mov_b64_e32 v[8:9], v[6:7]
	v_fma_f64 v[6:7], v[2:3], v[8:9], -v[0:1]
	v_accvgpr_write_b32 a39, v11
	v_accvgpr_write_b32 a38, v10
	v_accvgpr_write_b32 a37, v9
	v_accvgpr_write_b32 a36, v8
	ds_write_b128 v156, v[4:7] offset:30240
	s_waitcnt lgkmcnt(0)
	s_barrier
	ds_read_b128 v[12:15], v156
	ds_read_b128 v[20:23], v156 offset:10800
	ds_read_b128 v[24:27], v156 offset:21600
	;; [unrolled: 1-line block ×14, first 2 shown]
	s_waitcnt lgkmcnt(12)
	v_add_f64 v[62:63], v[20:21], v[24:25]
	v_add_f64 v[60:61], v[12:13], v[20:21]
	v_fmac_f64_e32 v[12:13], -0.5, v[62:63]
	v_add_f64 v[62:63], v[22:23], -v[26:27]
	v_fma_f64 v[68:69], s[2:3], v[62:63], v[12:13]
	v_fmac_f64_e32 v[12:13], s[4:5], v[62:63]
	v_add_f64 v[62:63], v[14:15], v[22:23]
	v_add_f64 v[22:23], v[22:23], v[26:27]
	v_fmac_f64_e32 v[14:15], -0.5, v[22:23]
	v_add_f64 v[20:21], v[20:21], -v[24:25]
	s_waitcnt lgkmcnt(9)
	v_add_f64 v[22:23], v[28:29], v[32:33]
	v_add_f64 v[62:63], v[62:63], v[26:27]
	v_fma_f64 v[70:71], s[4:5], v[20:21], v[14:15]
	v_fmac_f64_e32 v[14:15], s[2:3], v[20:21]
	v_add_f64 v[20:21], v[0:1], v[28:29]
	v_fmac_f64_e32 v[0:1], -0.5, v[22:23]
	v_add_f64 v[22:23], v[30:31], -v[34:35]
	v_add_f64 v[26:27], v[30:31], v[34:35]
	v_add_f64 v[60:61], v[60:61], v[24:25]
	v_fma_f64 v[24:25], s[2:3], v[22:23], v[0:1]
	v_fmac_f64_e32 v[0:1], s[4:5], v[22:23]
	v_add_f64 v[22:23], v[2:3], v[30:31]
	v_fmac_f64_e32 v[2:3], -0.5, v[26:27]
	v_add_f64 v[28:29], v[28:29], -v[32:33]
	s_waitcnt lgkmcnt(6)
	v_add_f64 v[30:31], v[36:37], v[40:41]
	v_add_f64 v[22:23], v[22:23], v[34:35]
	v_fma_f64 v[26:27], s[4:5], v[28:29], v[2:3]
	v_fmac_f64_e32 v[2:3], s[2:3], v[28:29]
	v_add_f64 v[28:29], v[4:5], v[36:37]
	v_fmac_f64_e32 v[4:5], -0.5, v[30:31]
	v_add_f64 v[30:31], v[38:39], -v[42:43]
	v_add_f64 v[34:35], v[38:39], v[42:43]
	v_add_f64 v[20:21], v[20:21], v[32:33]
	v_fma_f64 v[32:33], s[2:3], v[30:31], v[4:5]
	v_fmac_f64_e32 v[4:5], s[4:5], v[30:31]
	;; [unrolled: 15-line block ×4, first 2 shown]
	v_add_f64 v[46:47], v[18:19], v[54:55]
	v_fmac_f64_e32 v[18:19], -0.5, v[50:51]
	v_add_f64 v[52:53], v[52:53], -v[56:57]
	v_fma_f64 v[50:51], s[4:5], v[52:53], v[18:19]
	v_fmac_f64_e32 v[18:19], s[2:3], v[52:53]
	v_mul_lo_u16_e32 v52, 3, v112
	v_lshlrev_b32_e32 v52, 4, v52
	s_barrier
	ds_write_b128 v52, v[60:63]
	ds_write_b128 v52, v[68:71] offset:16
	ds_write_b128 v52, v[12:15] offset:32
	v_mul_u32_u24_e32 v12, 3, v120
	v_lshlrev_b32_e32 v12, 4, v12
	v_accvgpr_write_b32 a71, v52
	ds_write_b128 v12, v[20:23]
	ds_write_b128 v12, v[24:27] offset:16
	ds_write_b128 v12, v[0:3] offset:32
	v_mul_u32_u24_e32 v0, 3, v122
	v_mul_lo_u16_sdwa v52, v112, s8 dst_sel:DWORD dst_unused:UNUSED_PAD src0_sel:BYTE_0 src1_sel:DWORD
	v_lshlrev_b32_e32 v0, 4, v0
	v_lshrrev_b16_e32 v68, 9, v52
	ds_write_b128 v0, v[28:31]
	ds_write_b128 v0, v[32:35] offset:16
	ds_write_b128 v0, v[4:7] offset:32
	v_accvgpr_write_b32 a80, v0
	v_mul_u32_u24_e32 v0, 3, v128
	v_mul_lo_u16_e32 v52, 3, v68
	v_lshlrev_b32_e32 v0, 4, v0
	v_sub_u16_e32 v52, v112, v52
	ds_write_b128 v0, v[36:39]
	ds_write_b128 v0, v[40:43] offset:16
	ds_write_b128 v0, v[8:11] offset:32
	v_accvgpr_write_b32 a70, v0
	v_mul_u32_u24_e32 v0, 3, v138
	v_and_b32_e32 v69, 0xff, v52
	v_add_f64 v[44:45], v[44:45], v[56:57]
	v_add_f64 v[46:47], v[46:47], v[58:59]
	v_lshlrev_b32_e32 v0, 4, v0
	v_lshlrev_b32_e32 v52, 5, v69
	v_accvgpr_write_b32 a81, v12
	ds_write_b128 v0, v[44:47]
	ds_write_b128 v0, v[48:51] offset:16
	ds_write_b128 v0, v[16:19] offset:32
	v_accvgpr_write_b32 a65, v0
	s_waitcnt lgkmcnt(0)
	s_barrier
	ds_read_b128 v[16:19], v156
	ds_read_b128 v[54:57], v156 offset:10800
	ds_read_b128 v[58:61], v156 offset:21600
	;; [unrolled: 1-line block ×14, first 2 shown]
	global_load_dwordx4 v[70:73], v52, s[6:7] offset:16
	global_load_dwordx4 v[74:77], v52, s[6:7]
	s_mov_b32 s8, 0xaaab
	s_waitcnt vmcnt(1)
	v_accvgpr_write_b32 a66, v70
	s_waitcnt vmcnt(0) lgkmcnt(13)
	v_mul_f64 v[52:53], v[56:57], v[76:77]
	v_fma_f64 v[52:53], v[54:55], v[74:75], -v[52:53]
	v_mul_f64 v[54:55], v[54:55], v[76:77]
	v_fmac_f64_e32 v[54:55], v[56:57], v[74:75]
	s_waitcnt lgkmcnt(12)
	v_mul_f64 v[56:57], v[60:61], v[72:73]
	v_fma_f64 v[56:57], v[58:59], v[70:71], -v[56:57]
	v_mul_f64 v[58:59], v[58:59], v[72:73]
	v_fmac_f64_e32 v[58:59], v[60:61], v[70:71]
	v_mul_u32_u24_sdwa v60, v120, s8 dst_sel:DWORD dst_unused:UNUSED_PAD src0_sel:WORD_0 src1_sel:DWORD
	v_accvgpr_write_b32 a67, v71
	v_accvgpr_write_b32 a68, v72
	;; [unrolled: 1-line block ×3, first 2 shown]
	v_lshrrev_b32_e32 v70, 17, v60
	v_mul_lo_u16_e32 v60, 3, v70
	v_sub_u16_e32 v71, v120, v60
	v_lshlrev_b16_e32 v60, 1, v71
	v_accvgpr_write_b32 a72, v74
	v_lshlrev_b32_e32 v60, 4, v60
	v_accvgpr_write_b32 a73, v75
	v_accvgpr_write_b32 a74, v76
	;; [unrolled: 1-line block ×3, first 2 shown]
	global_load_dwordx4 v[72:75], v60, s[6:7] offset:16
	global_load_dwordx4 v[76:79], v60, s[6:7]
	s_waitcnt vmcnt(1)
	v_accvgpr_write_b32 a99, v75
	s_waitcnt vmcnt(0) lgkmcnt(10)
	v_mul_f64 v[60:61], v[50:51], v[78:79]
	v_fma_f64 v[60:61], v[48:49], v[76:77], -v[60:61]
	v_mul_f64 v[48:49], v[48:49], v[78:79]
	v_fmac_f64_e32 v[48:49], v[50:51], v[76:77]
	s_waitcnt lgkmcnt(9)
	v_mul_f64 v[50:51], v[46:47], v[74:75]
	v_fma_f64 v[50:51], v[44:45], v[72:73], -v[50:51]
	v_mul_f64 v[44:45], v[44:45], v[74:75]
	v_fmac_f64_e32 v[44:45], v[46:47], v[72:73]
	v_mul_u32_u24_sdwa v46, v122, s8 dst_sel:DWORD dst_unused:UNUSED_PAD src0_sel:WORD_0 src1_sel:DWORD
	v_accvgpr_write_b32 a98, v74
	v_accvgpr_write_b32 a97, v73
	;; [unrolled: 1-line block ×3, first 2 shown]
	v_lshrrev_b32_e32 v72, 17, v46
	v_mul_lo_u16_e32 v46, 3, v72
	v_sub_u16_e32 v73, v122, v46
	v_lshlrev_b16_e32 v46, 1, v73
	v_lshlrev_b32_e32 v46, 4, v46
	global_load_dwordx4 v[116:119], v46, s[6:7] offset:16
	global_load_dwordx4 v[124:127], v46, s[6:7]
	v_accvgpr_write_b32 a103, v79
	v_accvgpr_write_b32 a102, v78
	;; [unrolled: 1-line block ×4, first 2 shown]
	s_waitcnt vmcnt(1) lgkmcnt(6)
	v_mul_f64 v[62:63], v[36:37], v[118:119]
	s_waitcnt vmcnt(0)
	v_mul_f64 v[46:47], v[42:43], v[126:127]
	v_fma_f64 v[46:47], v[40:41], v[124:125], -v[46:47]
	v_mul_f64 v[40:41], v[40:41], v[126:127]
	v_fmac_f64_e32 v[40:41], v[42:43], v[124:125]
	v_mul_f64 v[42:43], v[38:39], v[118:119]
	v_fma_f64 v[42:43], v[36:37], v[116:117], -v[42:43]
	v_mul_u32_u24_sdwa v36, v128, s8 dst_sel:DWORD dst_unused:UNUSED_PAD src0_sel:WORD_0 src1_sel:DWORD
	v_lshrrev_b32_e32 v74, 17, v36
	v_mul_lo_u16_e32 v36, 3, v74
	v_sub_u16_e32 v75, v128, v36
	v_lshlrev_b16_e32 v36, 1, v75
	v_lshlrev_b32_e32 v36, 4, v36
	global_load_dwordx4 v[100:103], v36, s[6:7] offset:16
	global_load_dwordx4 v[84:87], v36, s[6:7]
	v_fmac_f64_e32 v[62:63], v[38:39], v[116:117]
	s_waitcnt vmcnt(1) lgkmcnt(3)
	v_mul_f64 v[98:99], v[28:29], v[102:103]
	s_waitcnt vmcnt(0)
	v_mul_f64 v[36:37], v[34:35], v[86:87]
	v_fma_f64 v[92:93], v[32:33], v[84:85], -v[36:37]
	v_mul_f64 v[94:95], v[32:33], v[86:87]
	v_mul_f64 v[32:33], v[30:31], v[102:103]
	v_fma_f64 v[96:97], v[28:29], v[100:101], -v[32:33]
	v_mul_u32_u24_sdwa v28, v138, s8 dst_sel:DWORD dst_unused:UNUSED_PAD src0_sel:WORD_0 src1_sel:DWORD
	v_lshrrev_b32_e32 v114, 17, v28
	v_mul_lo_u16_e32 v28, 3, v114
	v_sub_u16_e32 v115, v138, v28
	v_lshlrev_b16_e32 v28, 1, v115
	v_lshlrev_b32_e32 v28, 4, v28
	global_load_dwordx4 v[76:79], v28, s[6:7] offset:16
	global_load_dwordx4 v[160:163], v28, s[6:7]
	v_fmac_f64_e32 v[94:95], v[34:35], v[84:85]
	v_fmac_f64_e32 v[98:99], v[30:31], v[100:101]
	s_waitcnt lgkmcnt(0)
	s_barrier
	s_mov_b32 s8, 0xe38f
	s_waitcnt vmcnt(1)
	v_mul_f64 v[110:111], v[20:21], v[78:79]
	s_waitcnt vmcnt(0)
	v_mul_f64 v[28:29], v[26:27], v[162:163]
	v_fma_f64 v[104:105], v[24:25], v[160:161], -v[28:29]
	v_mul_f64 v[106:107], v[24:25], v[162:163]
	v_mul_f64 v[24:25], v[22:23], v[78:79]
	v_fma_f64 v[108:109], v[20:21], v[76:77], -v[24:25]
	v_add_f64 v[20:21], v[16:17], v[52:53]
	v_add_f64 v[80:81], v[20:21], v[56:57]
	v_add_f64 v[20:21], v[52:53], v[56:57]
	v_fmac_f64_e32 v[16:17], -0.5, v[20:21]
	v_add_f64 v[20:21], v[54:55], -v[58:59]
	v_fma_f64 v[88:89], s[2:3], v[20:21], v[16:17]
	v_fmac_f64_e32 v[16:17], s[4:5], v[20:21]
	v_add_f64 v[20:21], v[18:19], v[54:55]
	v_add_f64 v[82:83], v[20:21], v[58:59]
	v_add_f64 v[20:21], v[54:55], v[58:59]
	v_fmac_f64_e32 v[18:19], -0.5, v[20:21]
	v_add_f64 v[20:21], v[52:53], -v[56:57]
	v_fma_f64 v[90:91], s[4:5], v[20:21], v[18:19]
	v_fmac_f64_e32 v[18:19], s[2:3], v[20:21]
	;; [unrolled: 7-line block ×8, first 2 shown]
	v_add_f64 v[20:21], v[0:1], v[104:105]
	v_fmac_f64_e32 v[106:107], v[26:27], v[160:161]
	v_fmac_f64_e32 v[110:111], v[22:23], v[76:77]
	v_add_f64 v[24:25], v[20:21], v[108:109]
	v_add_f64 v[20:21], v[104:105], v[108:109]
	v_fmac_f64_e32 v[0:1], -0.5, v[20:21]
	v_add_f64 v[22:23], v[106:107], -v[110:111]
	v_fma_f64 v[20:21], s[2:3], v[22:23], v[0:1]
	v_fmac_f64_e32 v[0:1], s[4:5], v[22:23]
	v_add_f64 v[22:23], v[2:3], v[106:107]
	v_add_f64 v[26:27], v[22:23], v[110:111]
	;; [unrolled: 1-line block ×3, first 2 shown]
	v_fmac_f64_e32 v[2:3], -0.5, v[22:23]
	v_add_f64 v[40:41], v[104:105], -v[108:109]
	v_fma_f64 v[22:23], s[4:5], v[40:41], v[2:3]
	v_fmac_f64_e32 v[2:3], s[2:3], v[40:41]
	v_mul_u32_u24_e32 v40, 9, v68
	v_add_lshl_u32 v40, v40, v69, 4
	ds_write_b128 v40, v[80:83]
	ds_write_b128 v40, v[88:91] offset:48
	ds_write_b128 v40, v[16:19] offset:96
	v_mad_legacy_u16 v16, v70, 9, v71
	v_lshlrev_b32_e32 v16, 4, v16
	ds_write_b128 v16, v[52:55]
	ds_write_b128 v16, v[56:59] offset:48
	ds_write_b128 v16, v[12:15] offset:96
	v_mad_legacy_u16 v12, v72, 9, v73
	v_lshlrev_b32_e32 v12, 4, v12
	ds_write_b128 v12, v[48:51]
	ds_write_b128 v12, v[36:39] offset:48
	ds_write_b128 v12, v[8:11] offset:96
	v_mad_legacy_u16 v8, v74, 9, v75
	v_mov_b32_e32 v52, 57
	v_lshlrev_b32_e32 v8, 4, v8
	v_mul_lo_u16_sdwa v52, v112, v52 dst_sel:DWORD dst_unused:UNUSED_PAD src0_sel:BYTE_0 src1_sel:DWORD
	ds_write_b128 v8, v[32:35]
	ds_write_b128 v8, v[28:31] offset:48
	ds_write_b128 v8, v[4:7] offset:96
	v_mad_legacy_u16 v4, v114, 9, v115
	v_lshrrev_b16_e32 v114, 9, v52
	v_mul_lo_u16_e32 v52, 9, v114
	v_sub_u16_e32 v52, v112, v52
	v_and_b32_e32 v115, 0xff, v52
	v_lshlrev_b32_e32 v4, 4, v4
	v_lshlrev_b32_e32 v52, 6, v115
	v_accvgpr_write_b32 a123, v40
	v_accvgpr_write_b32 a122, v16
	;; [unrolled: 1-line block ×4, first 2 shown]
	ds_write_b128 v4, v[24:27]
	ds_write_b128 v4, v[20:23] offset:48
	ds_write_b128 v4, v[0:3] offset:96
	v_accvgpr_write_b32 a94, v4
	s_waitcnt lgkmcnt(0)
	s_barrier
	ds_read_b128 v[8:11], v156
	ds_read_b128 v[44:47], v156 offset:6480
	ds_read_b128 v[48:51], v156 offset:12960
	;; [unrolled: 1-line block ×14, first 2 shown]
	global_load_dwordx4 v[72:75], v52, s[6:7] offset:144
	global_load_dwordx4 v[60:63], v52, s[6:7] offset:128
	;; [unrolled: 1-line block ×4, first 2 shown]
	s_waitcnt vmcnt(3)
	v_accvgpr_write_b32 a107, v75
	v_accvgpr_write_b32 a106, v74
	s_waitcnt vmcnt(1)
	v_accvgpr_write_b32 a115, v83
	s_waitcnt vmcnt(0) lgkmcnt(13)
	v_mul_f64 v[52:53], v[46:47], v[90:91]
	v_fma_f64 v[52:53], v[44:45], v[88:89], -v[52:53]
	v_mul_f64 v[44:45], v[44:45], v[90:91]
	v_fmac_f64_e32 v[44:45], v[46:47], v[88:89]
	s_waitcnt lgkmcnt(12)
	v_mul_f64 v[46:47], v[50:51], v[82:83]
	v_fma_f64 v[54:55], v[48:49], v[80:81], -v[46:47]
	v_mul_f64 v[46:47], v[48:49], v[82:83]
	v_fmac_f64_e32 v[46:47], v[50:51], v[80:81]
	v_accvgpr_write_b32 a114, v82
	v_accvgpr_write_b32 a113, v81
	;; [unrolled: 1-line block ×3, first 2 shown]
	v_mov_b64_e32 v[82:83], v[62:63]
	v_mov_b64_e32 v[80:81], v[60:61]
	s_waitcnt lgkmcnt(11)
	v_mul_f64 v[48:49], v[58:59], v[82:83]
	v_fma_f64 v[60:61], v[56:57], v[80:81], -v[48:49]
	v_mul_f64 v[48:49], v[56:57], v[82:83]
	v_mul_u32_u24_sdwa v56, v120, s8 dst_sel:DWORD dst_unused:UNUSED_PAD src0_sel:WORD_0 src1_sel:DWORD
	v_lshrrev_b32_e32 v123, 19, v56
	v_mul_lo_u16_e32 v56, 9, v123
	v_sub_u16_e32 v129, v120, v56
	v_lshlrev_b16_e32 v56, 6, v129
	v_mov_b32_e32 v57, v157
	v_accvgpr_write_b32 a119, v91
	v_accvgpr_write_b32 a111, v83
	v_lshl_add_u64 v[56:57], s[6:7], 0, v[56:57]
	v_accvgpr_write_b32 a118, v90
	v_accvgpr_write_b32 a117, v89
	;; [unrolled: 1-line block ×3, first 2 shown]
	v_fmac_f64_e32 v[48:49], v[58:59], v[80:81]
	v_accvgpr_write_b32 a110, v82
	v_accvgpr_write_b32 a109, v81
	;; [unrolled: 1-line block ×3, first 2 shown]
	global_load_dwordx4 v[104:107], v[56:57], off offset:144
	global_load_dwordx4 v[96:99], v[56:57], off offset:128
	;; [unrolled: 1-line block ×4, first 2 shown]
	s_waitcnt lgkmcnt(10)
	v_mul_f64 v[50:51], v[70:71], v[74:75]
	v_fma_f64 v[62:63], v[68:69], v[72:73], -v[50:51]
	v_mul_f64 v[50:51], v[68:69], v[74:75]
	v_fmac_f64_e32 v[50:51], v[70:71], v[72:73]
	v_accvgpr_write_b32 a105, v73
	v_accvgpr_write_b32 a104, v72
	s_waitcnt vmcnt(0) lgkmcnt(8)
	v_mul_f64 v[56:57], v[42:43], v[82:83]
	v_fma_f64 v[56:57], v[40:41], v[80:81], -v[56:57]
	v_mul_f64 v[40:41], v[40:41], v[82:83]
	v_fmac_f64_e32 v[40:41], v[42:43], v[80:81]
	s_waitcnt lgkmcnt(7)
	v_mul_f64 v[42:43], v[38:39], v[90:91]
	v_fma_f64 v[58:59], v[36:37], v[88:89], -v[42:43]
	v_mul_f64 v[42:43], v[36:37], v[90:91]
	s_waitcnt lgkmcnt(6)
	v_mul_f64 v[36:37], v[34:35], v[98:99]
	v_fma_f64 v[70:71], v[32:33], v[96:97], -v[36:37]
	v_mul_f64 v[32:33], v[32:33], v[98:99]
	v_fmac_f64_e32 v[32:33], v[34:35], v[96:97]
	s_waitcnt lgkmcnt(5)
	v_mul_f64 v[34:35], v[30:31], v[106:107]
	v_fmac_f64_e32 v[42:43], v[38:39], v[88:89]
	v_fma_f64 v[38:39], v[28:29], v[104:105], -v[34:35]
	v_mul_f64 v[34:35], v[28:29], v[106:107]
	v_mul_u32_u24_sdwa v28, v122, s8 dst_sel:DWORD dst_unused:UNUSED_PAD src0_sel:WORD_0 src1_sel:DWORD
	v_lshrrev_b32_e32 v139, 19, v28
	v_mul_lo_u16_e32 v28, 9, v139
	v_sub_u16_e32 v170, v122, v28
	v_lshlrev_b16_e32 v28, 6, v170
	v_mov_b32_e32 v29, v157
	v_lshl_add_u64 v[28:29], s[6:7], 0, v[28:29]
	global_load_dwordx4 v[172:175], v[28:29], off offset:144
	global_load_dwordx4 v[180:183], v[28:29], off offset:128
	;; [unrolled: 1-line block ×4, first 2 shown]
	s_mov_b32 s8, 0x134454ff
	s_mov_b32 s9, 0x3fee6f0e
	;; [unrolled: 1-line block ×3, first 2 shown]
	v_fmac_f64_e32 v[34:35], v[30:31], v[104:105]
	v_add_f64 v[30:31], v[54:55], -v[60:61]
	v_add_f64 v[36:37], v[50:51], -v[48:49]
	s_waitcnt lgkmcnt(0)
	s_barrier
	s_waitcnt vmcnt(3)
	v_mul_f64 v[164:165], v[12:13], v[174:175]
	s_waitcnt vmcnt(2)
	v_mul_f64 v[136:137], v[16:17], v[182:183]
	;; [unrolled: 2-line block ×4, first 2 shown]
	v_fma_f64 v[74:75], v[24:25], v[192:193], -v[28:29]
	v_mul_f64 v[130:131], v[24:25], v[194:195]
	v_mul_f64 v[24:25], v[22:23], v[186:187]
	v_fma_f64 v[110:111], v[20:21], v[184:185], -v[24:25]
	v_mul_f64 v[20:21], v[18:19], v[182:183]
	v_fma_f64 v[166:167], v[16:17], v[180:181], -v[20:21]
	;; [unrolled: 2-line block ×3, first 2 shown]
	v_add_f64 v[12:13], v[8:9], v[52:53]
	v_add_f64 v[12:13], v[12:13], v[54:55]
	;; [unrolled: 1-line block ×5, first 2 shown]
	v_fmac_f64_e32 v[164:165], v[14:15], v[172:173]
	v_fma_f64 v[12:13], -0.5, v[12:13], v[8:9]
	v_add_f64 v[14:15], v[44:45], -v[50:51]
	v_fmac_f64_e32 v[134:135], v[22:23], v[184:185]
	v_fmac_f64_e32 v[136:137], v[18:19], v[180:181]
	v_fma_f64 v[16:17], s[8:9], v[14:15], v[12:13]
	v_add_f64 v[18:19], v[46:47], -v[48:49]
	v_add_f64 v[22:23], v[52:53], -v[54:55]
	;; [unrolled: 1-line block ×3, first 2 shown]
	v_fmac_f64_e32 v[12:13], s[16:17], v[14:15]
	v_fmac_f64_e32 v[16:17], s[10:11], v[18:19]
	v_add_f64 v[22:23], v[22:23], v[24:25]
	v_fmac_f64_e32 v[12:13], s[14:15], v[18:19]
	v_fmac_f64_e32 v[16:17], s[12:13], v[22:23]
	;; [unrolled: 1-line block ×3, first 2 shown]
	v_add_f64 v[22:23], v[52:53], v[62:63]
	v_fmac_f64_e32 v[8:9], -0.5, v[22:23]
	v_fma_f64 v[24:25], s[16:17], v[18:19], v[8:9]
	v_fmac_f64_e32 v[8:9], s[8:9], v[18:19]
	v_fmac_f64_e32 v[24:25], s[10:11], v[14:15]
	v_fmac_f64_e32 v[8:9], s[14:15], v[14:15]
	v_add_f64 v[14:15], v[10:11], v[44:45]
	v_fmac_f64_e32 v[130:131], v[26:27], v[192:193]
	v_add_f64 v[22:23], v[54:55], -v[52:53]
	v_add_f64 v[26:27], v[60:61], -v[62:63]
	v_add_f64 v[14:15], v[14:15], v[46:47]
	v_add_f64 v[22:23], v[22:23], v[26:27]
	v_add_f64 v[14:15], v[14:15], v[48:49]
	v_fmac_f64_e32 v[24:25], s[12:13], v[22:23]
	v_fmac_f64_e32 v[8:9], s[12:13], v[22:23]
	v_add_f64 v[22:23], v[14:15], v[50:51]
	v_add_f64 v[14:15], v[46:47], v[48:49]
	v_fma_f64 v[14:15], -0.5, v[14:15], v[10:11]
	v_add_f64 v[28:29], v[52:53], -v[62:63]
	v_fma_f64 v[18:19], s[16:17], v[28:29], v[14:15]
	v_add_f64 v[26:27], v[44:45], -v[46:47]
	v_fmac_f64_e32 v[14:15], s[8:9], v[28:29]
	v_fmac_f64_e32 v[18:19], s[14:15], v[30:31]
	v_add_f64 v[26:27], v[26:27], v[36:37]
	v_fmac_f64_e32 v[14:15], s[10:11], v[30:31]
	v_fmac_f64_e32 v[18:19], s[12:13], v[26:27]
	;; [unrolled: 1-line block ×3, first 2 shown]
	v_add_f64 v[26:27], v[44:45], v[50:51]
	v_fmac_f64_e32 v[10:11], -0.5, v[26:27]
	v_fma_f64 v[26:27], s[8:9], v[30:31], v[10:11]
	v_fmac_f64_e32 v[10:11], s[16:17], v[30:31]
	v_fmac_f64_e32 v[26:27], s[14:15], v[28:29]
	v_fmac_f64_e32 v[10:11], s[10:11], v[28:29]
	v_add_f64 v[28:29], v[4:5], v[56:57]
	v_add_f64 v[28:29], v[28:29], v[58:59]
	;; [unrolled: 1-line block ×3, first 2 shown]
	v_add_f64 v[36:37], v[46:47], -v[44:45]
	v_add_f64 v[44:45], v[48:49], -v[50:51]
	v_add_f64 v[60:61], v[28:29], v[38:39]
	v_add_f64 v[28:29], v[58:59], v[70:71]
	;; [unrolled: 1-line block ×3, first 2 shown]
	v_fma_f64 v[28:29], -0.5, v[28:29], v[4:5]
	v_add_f64 v[30:31], v[40:41], -v[34:35]
	v_fmac_f64_e32 v[26:27], s[12:13], v[36:37]
	v_fmac_f64_e32 v[10:11], s[12:13], v[36:37]
	v_fma_f64 v[36:37], s[8:9], v[30:31], v[28:29]
	v_add_f64 v[44:45], v[42:43], -v[32:33]
	v_add_f64 v[46:47], v[56:57], -v[58:59]
	;; [unrolled: 1-line block ×3, first 2 shown]
	v_fmac_f64_e32 v[28:29], s[16:17], v[30:31]
	v_fmac_f64_e32 v[36:37], s[10:11], v[44:45]
	v_add_f64 v[46:47], v[46:47], v[48:49]
	v_fmac_f64_e32 v[28:29], s[14:15], v[44:45]
	v_fmac_f64_e32 v[36:37], s[12:13], v[46:47]
	v_fmac_f64_e32 v[28:29], s[12:13], v[46:47]
	v_add_f64 v[46:47], v[56:57], v[38:39]
	v_fmac_f64_e32 v[4:5], -0.5, v[46:47]
	v_fma_f64 v[68:69], s[16:17], v[44:45], v[4:5]
	v_fmac_f64_e32 v[4:5], s[8:9], v[44:45]
	v_fmac_f64_e32 v[68:69], s[10:11], v[30:31]
	;; [unrolled: 1-line block ×3, first 2 shown]
	v_add_f64 v[30:31], v[6:7], v[40:41]
	v_add_f64 v[30:31], v[30:31], v[42:43]
	;; [unrolled: 1-line block ×3, first 2 shown]
	v_add_f64 v[46:47], v[58:59], -v[56:57]
	v_add_f64 v[48:49], v[70:71], -v[38:39]
	v_add_f64 v[62:63], v[30:31], v[34:35]
	v_add_f64 v[30:31], v[42:43], v[32:33]
	;; [unrolled: 1-line block ×3, first 2 shown]
	v_fma_f64 v[30:31], -0.5, v[30:31], v[6:7]
	v_add_f64 v[44:45], v[56:57], -v[38:39]
	v_fmac_f64_e32 v[68:69], s[12:13], v[46:47]
	v_fmac_f64_e32 v[4:5], s[12:13], v[46:47]
	v_fma_f64 v[38:39], s[16:17], v[44:45], v[30:31]
	v_add_f64 v[46:47], v[58:59], -v[70:71]
	v_add_f64 v[48:49], v[40:41], -v[42:43]
	;; [unrolled: 1-line block ×3, first 2 shown]
	v_fmac_f64_e32 v[30:31], s[8:9], v[44:45]
	v_fmac_f64_e32 v[38:39], s[14:15], v[46:47]
	v_add_f64 v[48:49], v[48:49], v[50:51]
	v_fmac_f64_e32 v[30:31], s[10:11], v[46:47]
	v_fmac_f64_e32 v[38:39], s[12:13], v[48:49]
	;; [unrolled: 1-line block ×3, first 2 shown]
	v_add_f64 v[48:49], v[40:41], v[34:35]
	v_fmac_f64_e32 v[6:7], -0.5, v[48:49]
	v_fma_f64 v[70:71], s[8:9], v[46:47], v[6:7]
	v_add_f64 v[40:41], v[42:43], -v[40:41]
	v_add_f64 v[32:33], v[32:33], -v[34:35]
	v_fmac_f64_e32 v[6:7], s[16:17], v[46:47]
	v_fmac_f64_e32 v[70:71], s[14:15], v[44:45]
	v_add_f64 v[32:33], v[40:41], v[32:33]
	v_fmac_f64_e32 v[6:7], s[10:11], v[44:45]
	v_fmac_f64_e32 v[70:71], s[12:13], v[32:33]
	;; [unrolled: 1-line block ×3, first 2 shown]
	v_add_f64 v[32:33], v[0:1], v[74:75]
	v_add_f64 v[32:33], v[32:33], v[110:111]
	;; [unrolled: 1-line block ×5, first 2 shown]
	v_fma_f64 v[32:33], -0.5, v[32:33], v[0:1]
	v_add_f64 v[34:35], v[130:131], -v[164:165]
	v_fma_f64 v[72:73], s[8:9], v[34:35], v[32:33]
	v_add_f64 v[40:41], v[134:135], -v[136:137]
	v_add_f64 v[42:43], v[74:75], -v[110:111]
	;; [unrolled: 1-line block ×3, first 2 shown]
	v_fmac_f64_e32 v[32:33], s[16:17], v[34:35]
	v_fmac_f64_e32 v[72:73], s[10:11], v[40:41]
	v_add_f64 v[42:43], v[42:43], v[44:45]
	v_fmac_f64_e32 v[32:33], s[14:15], v[40:41]
	v_fmac_f64_e32 v[72:73], s[12:13], v[42:43]
	v_fmac_f64_e32 v[32:33], s[12:13], v[42:43]
	v_add_f64 v[42:43], v[74:75], v[168:169]
	v_fmac_f64_e32 v[0:1], -0.5, v[42:43]
	v_fma_f64 v[108:109], s[16:17], v[40:41], v[0:1]
	v_fmac_f64_e32 v[0:1], s[8:9], v[40:41]
	v_fmac_f64_e32 v[108:109], s[10:11], v[34:35]
	v_fmac_f64_e32 v[0:1], s[14:15], v[34:35]
	v_add_f64 v[34:35], v[2:3], v[130:131]
	v_add_f64 v[34:35], v[34:35], v[134:135]
	;; [unrolled: 1-line block ×3, first 2 shown]
	v_add_f64 v[42:43], v[110:111], -v[74:75]
	v_add_f64 v[44:45], v[166:167], -v[168:169]
	v_add_f64 v[94:95], v[34:35], v[164:165]
	v_add_f64 v[34:35], v[134:135], v[136:137]
	;; [unrolled: 1-line block ×3, first 2 shown]
	v_fma_f64 v[34:35], -0.5, v[34:35], v[2:3]
	v_add_f64 v[40:41], v[74:75], -v[168:169]
	v_fmac_f64_e32 v[108:109], s[12:13], v[42:43]
	v_fmac_f64_e32 v[0:1], s[12:13], v[42:43]
	v_fma_f64 v[74:75], s[16:17], v[40:41], v[34:35]
	v_add_f64 v[42:43], v[110:111], -v[166:167]
	v_add_f64 v[44:45], v[130:131], -v[134:135]
	;; [unrolled: 1-line block ×3, first 2 shown]
	v_fmac_f64_e32 v[34:35], s[8:9], v[40:41]
	v_fmac_f64_e32 v[74:75], s[14:15], v[42:43]
	v_add_f64 v[44:45], v[44:45], v[46:47]
	v_fmac_f64_e32 v[34:35], s[10:11], v[42:43]
	v_fmac_f64_e32 v[74:75], s[12:13], v[44:45]
	;; [unrolled: 1-line block ×3, first 2 shown]
	v_add_f64 v[44:45], v[130:131], v[164:165]
	v_fmac_f64_e32 v[2:3], -0.5, v[44:45]
	v_fma_f64 v[110:111], s[8:9], v[42:43], v[2:3]
	v_fmac_f64_e32 v[2:3], s[16:17], v[42:43]
	v_mul_lo_u16_sdwa v52, v112, s19 dst_sel:DWORD dst_unused:UNUSED_PAD src0_sel:BYTE_0 src1_sel:DWORD
	v_fmac_f64_e32 v[110:111], s[14:15], v[40:41]
	v_fmac_f64_e32 v[2:3], s[10:11], v[40:41]
	v_mul_u32_u24_e32 v40, 45, v114
	v_sub_u16_sdwa v53, v112, v52 dst_sel:DWORD dst_unused:UNUSED_PAD src0_sel:DWORD src1_sel:BYTE_1
	v_add_lshl_u32 v40, v40, v115, 4
	v_lshrrev_b16_e32 v53, 1, v53
	ds_write_b128 v40, v[20:23]
	ds_write_b128 v40, v[16:19] offset:144
	ds_write_b128 v40, v[24:27] offset:288
	ds_write_b128 v40, v[8:11] offset:432
	ds_write_b128 v40, v[12:15] offset:576
	v_mad_legacy_u16 v8, v123, 45, v129
	v_and_b32_e32 v53, 0x7f, v53
	v_lshlrev_b32_e32 v159, 4, v8
	v_add_u16_sdwa v52, v53, v52 dst_sel:DWORD dst_unused:UNUSED_PAD src0_sel:DWORD src1_sel:BYTE_1
	ds_write_b128 v159, v[60:63]
	ds_write_b128 v159, v[36:39] offset:144
	ds_write_b128 v159, v[68:71] offset:288
	;; [unrolled: 1-line block ×4, first 2 shown]
	v_mad_legacy_u16 v4, v139, 45, v170
	v_lshrrev_b16_e32 v139, 5, v52
	v_mul_lo_u16_e32 v52, 45, v139
	v_add_f64 v[44:45], v[134:135], -v[130:131]
	v_add_f64 v[46:47], v[136:137], -v[164:165]
	v_sub_u16_e32 v52, v112, v52
	v_add_f64 v[44:45], v[44:45], v[46:47]
	v_and_b32_e32 v224, 0xff, v52
	v_fmac_f64_e32 v[110:111], s[12:13], v[44:45]
	v_fmac_f64_e32 v[2:3], s[12:13], v[44:45]
	v_accvgpr_write_b32 a64, v159
	v_lshlrev_b32_e32 v159, 4, v4
	v_lshlrev_b32_e32 v52, 6, v224
	v_accvgpr_write_b32 a120, v40
	ds_write_b128 v159, v[92:95]
	ds_write_b128 v159, v[72:75] offset:144
	ds_write_b128 v159, v[108:111] offset:288
	ds_write_b128 v159, v[0:3] offset:432
	ds_write_b128 v159, v[32:35] offset:576
	s_waitcnt lgkmcnt(0)
	s_barrier
	ds_read_b128 v[8:11], v156
	ds_read_b128 v[44:47], v156 offset:6480
	ds_read_b128 v[48:51], v156 offset:12960
	;; [unrolled: 1-line block ×14, first 2 shown]
	global_load_dwordx4 v[72:75], v52, s[6:7] offset:720
	global_load_dwordx4 v[92:95], v52, s[6:7] offset:704
	;; [unrolled: 1-line block ×4, first 2 shown]
	s_movk_i32 s19, 0x2d83
	s_waitcnt vmcnt(3)
	v_accvgpr_write_b32 a79, v75
	v_accvgpr_write_b32 a78, v74
	;; [unrolled: 1-line block ×3, first 2 shown]
	s_waitcnt vmcnt(0) lgkmcnt(13)
	v_mul_f64 v[52:53], v[46:47], v[110:111]
	v_fma_f64 v[52:53], v[44:45], v[108:109], -v[52:53]
	v_mul_f64 v[44:45], v[44:45], v[110:111]
	v_accvgpr_write_b32 a90, v108
	v_fmac_f64_e32 v[44:45], v[46:47], v[108:109]
	v_accvgpr_write_b32 a91, v109
	v_accvgpr_write_b32 a92, v110
	;; [unrolled: 1-line block ×3, first 2 shown]
	v_mov_b64_e32 v[110:111], v[56:57]
	v_mov_b64_e32 v[108:109], v[54:55]
	s_waitcnt lgkmcnt(12)
	v_mul_f64 v[46:47], v[50:51], v[110:111]
	v_fma_f64 v[54:55], v[48:49], v[108:109], -v[46:47]
	v_mul_f64 v[46:47], v[48:49], v[110:111]
	s_waitcnt lgkmcnt(11)
	v_mul_f64 v[48:49], v[60:61], v[94:95]
	v_fma_f64 v[56:57], v[58:59], v[92:93], -v[48:49]
	v_mul_f64 v[48:49], v[58:59], v[94:95]
	v_fmac_f64_e32 v[48:49], v[60:61], v[92:93]
	v_mul_u32_u24_sdwa v60, v120, s19 dst_sel:DWORD dst_unused:UNUSED_PAD src0_sel:WORD_0 src1_sel:DWORD
	v_lshrrev_b32_e32 v115, 19, v60
	v_mul_lo_u16_e32 v60, 45, v115
	v_sub_u16_e32 v129, v120, v60
	v_fmac_f64_e32 v[46:47], v[50:51], v[108:109]
	s_waitcnt lgkmcnt(10)
	v_mul_f64 v[50:51], v[70:71], v[74:75]
	v_lshlrev_b16_e32 v60, 6, v129
	v_mov_b32_e32 v61, v157
	v_fma_f64 v[58:59], v[68:69], v[72:73], -v[50:51]
	v_mul_f64 v[50:51], v[68:69], v[74:75]
	v_lshl_add_u64 v[60:61], s[6:7], 0, v[60:61]
	v_fmac_f64_e32 v[50:51], v[70:71], v[72:73]
	v_accvgpr_write_b32 a76, v72
	global_load_dwordx4 v[130:133], v[60:61], off offset:720
	global_load_dwordx4 v[134:137], v[60:61], off offset:704
	;; [unrolled: 1-line block ×4, first 2 shown]
	v_accvgpr_write_b32 a82, v92
	v_accvgpr_write_b32 a86, v108
	v_accvgpr_write_b32 a83, v93
	v_accvgpr_write_b32 a84, v94
	v_accvgpr_write_b32 a85, v95
	v_accvgpr_write_b32 a87, v109
	v_accvgpr_write_b32 a88, v110
	v_accvgpr_write_b32 a89, v111
	s_waitcnt vmcnt(3) lgkmcnt(5)
	v_mul_f64 v[94:95], v[28:29], v[132:133]
	s_waitcnt vmcnt(2)
	v_mul_f64 v[62:63], v[32:33], v[136:137]
	v_accvgpr_write_b32 a124, v134
	s_waitcnt vmcnt(0)
	v_mul_f64 v[60:61], v[42:43], v[70:71]
	v_fma_f64 v[60:61], v[40:41], v[68:69], -v[60:61]
	v_mul_f64 v[40:41], v[40:41], v[70:71]
	v_fmac_f64_e32 v[40:41], v[42:43], v[68:69]
	v_mul_f64 v[42:43], v[38:39], v[74:75]
	v_fma_f64 v[92:93], v[36:37], v[72:73], -v[42:43]
	v_mul_f64 v[42:43], v[36:37], v[74:75]
	v_mul_f64 v[36:37], v[34:35], v[136:137]
	v_fma_f64 v[108:109], v[32:33], v[134:135], -v[36:37]
	v_mul_f64 v[32:33], v[30:31], v[132:133]
	v_fmac_f64_e32 v[62:63], v[34:35], v[134:135]
	v_accvgpr_write_b32 a125, v135
	v_accvgpr_write_b32 a126, v136
	;; [unrolled: 1-line block ×3, first 2 shown]
	v_fma_f64 v[134:135], v[28:29], v[130:131], -v[32:33]
	v_mul_u32_u24_sdwa v28, v122, s19 dst_sel:DWORD dst_unused:UNUSED_PAD src0_sel:WORD_0 src1_sel:DWORD
	v_lshrrev_b32_e32 v114, 19, v28
	v_mul_lo_u16_e32 v28, 45, v114
	v_sub_u16_e32 v123, v122, v28
	v_lshlrev_b16_e32 v28, 6, v123
	v_mov_b32_e32 v29, v157
	v_lshl_add_u64 v[28:29], s[6:7], 0, v[28:29]
	global_load_dwordx4 v[164:167], v[28:29], off offset:720
	global_load_dwordx4 v[168:171], v[28:29], off offset:704
	;; [unrolled: 1-line block ×4, first 2 shown]
	v_accvgpr_write_b32 a128, v130
	v_fmac_f64_e32 v[94:95], v[30:31], v[130:131]
	v_accvgpr_write_b32 a129, v131
	v_accvgpr_write_b32 a130, v132
	;; [unrolled: 1-line block ×3, first 2 shown]
	v_fmac_f64_e32 v[42:43], v[38:39], v[72:73]
	s_movk_i32 s19, 0xe1
	s_waitcnt lgkmcnt(0)
	s_barrier
	s_waitcnt vmcnt(3)
	v_mul_f64 v[220:221], v[12:13], v[166:167]
	s_waitcnt vmcnt(2)
	v_mul_f64 v[216:217], v[16:17], v[170:171]
	;; [unrolled: 2-line block ×4, first 2 shown]
	v_fma_f64 v[136:137], v[24:25], v[188:189], -v[28:29]
	v_mul_f64 v[110:111], v[24:25], v[190:191]
	v_mul_f64 v[24:25], v[22:23], v[178:179]
	v_fma_f64 v[218:219], v[20:21], v[176:177], -v[24:25]
	v_mul_f64 v[20:21], v[18:19], v[170:171]
	v_fma_f64 v[222:223], v[16:17], v[168:169], -v[20:21]
	v_mul_f64 v[16:17], v[14:15], v[166:167]
	v_fmac_f64_e32 v[216:217], v[18:19], v[168:169]
	v_fma_f64 v[18:19], v[12:13], v[164:165], -v[16:17]
	v_add_f64 v[12:13], v[8:9], v[52:53]
	v_add_f64 v[12:13], v[12:13], v[54:55]
	;; [unrolled: 1-line block ×5, first 2 shown]
	v_fma_f64 v[200:201], -0.5, v[12:13], v[8:9]
	v_add_f64 v[12:13], v[44:45], -v[50:51]
	v_fmac_f64_e32 v[220:221], v[14:15], v[164:165]
	v_fma_f64 v[32:33], s[8:9], v[12:13], v[200:201]
	v_add_f64 v[14:15], v[46:47], -v[48:49]
	v_add_f64 v[16:17], v[52:53], -v[54:55]
	;; [unrolled: 1-line block ×3, first 2 shown]
	v_fmac_f64_e32 v[200:201], s[16:17], v[12:13]
	v_fmac_f64_e32 v[32:33], s[10:11], v[14:15]
	v_add_f64 v[16:17], v[16:17], v[20:21]
	v_fmac_f64_e32 v[200:201], s[14:15], v[14:15]
	v_fmac_f64_e32 v[32:33], s[12:13], v[16:17]
	;; [unrolled: 1-line block ×3, first 2 shown]
	v_add_f64 v[16:17], v[52:53], v[58:59]
	v_fmac_f64_e32 v[8:9], -0.5, v[16:17]
	v_fma_f64 v[208:209], s[16:17], v[14:15], v[8:9]
	v_fmac_f64_e32 v[8:9], s[8:9], v[14:15]
	v_fmac_f64_e32 v[208:209], s[10:11], v[12:13]
	;; [unrolled: 1-line block ×3, first 2 shown]
	v_add_f64 v[12:13], v[10:11], v[44:45]
	v_add_f64 v[12:13], v[12:13], v[46:47]
	v_add_f64 v[12:13], v[12:13], v[48:49]
	v_add_f64 v[16:17], v[54:55], -v[52:53]
	v_add_f64 v[20:21], v[56:57], -v[58:59]
	v_add_f64 v[38:39], v[12:13], v[50:51]
	v_add_f64 v[12:13], v[46:47], v[48:49]
	;; [unrolled: 1-line block ×3, first 2 shown]
	v_fma_f64 v[202:203], -0.5, v[12:13], v[10:11]
	v_add_f64 v[12:13], v[52:53], -v[58:59]
	v_fmac_f64_e32 v[208:209], s[12:13], v[16:17]
	v_fmac_f64_e32 v[8:9], s[12:13], v[16:17]
	v_fma_f64 v[34:35], s[16:17], v[12:13], v[202:203]
	v_add_f64 v[14:15], v[54:55], -v[56:57]
	v_add_f64 v[16:17], v[44:45], -v[46:47]
	;; [unrolled: 1-line block ×3, first 2 shown]
	v_fmac_f64_e32 v[202:203], s[8:9], v[12:13]
	v_fmac_f64_e32 v[34:35], s[14:15], v[14:15]
	v_add_f64 v[16:17], v[16:17], v[20:21]
	v_fmac_f64_e32 v[202:203], s[10:11], v[14:15]
	v_fmac_f64_e32 v[34:35], s[12:13], v[16:17]
	;; [unrolled: 1-line block ×3, first 2 shown]
	v_add_f64 v[16:17], v[44:45], v[50:51]
	v_fmac_f64_e32 v[10:11], -0.5, v[16:17]
	v_fma_f64 v[210:211], s[8:9], v[14:15], v[10:11]
	v_fmac_f64_e32 v[10:11], s[16:17], v[14:15]
	v_fmac_f64_e32 v[210:211], s[14:15], v[12:13]
	;; [unrolled: 1-line block ×3, first 2 shown]
	v_add_f64 v[12:13], v[4:5], v[60:61]
	v_add_f64 v[12:13], v[12:13], v[92:93]
	;; [unrolled: 1-line block ×3, first 2 shown]
	v_add_f64 v[16:17], v[46:47], -v[44:45]
	v_add_f64 v[20:21], v[48:49], -v[50:51]
	v_add_f64 v[212:213], v[12:13], v[134:135]
	v_add_f64 v[12:13], v[92:93], v[108:109]
	;; [unrolled: 1-line block ×3, first 2 shown]
	v_fma_f64 v[20:21], -0.5, v[12:13], v[4:5]
	v_add_f64 v[12:13], v[40:41], -v[94:95]
	v_fmac_f64_e32 v[130:131], v[22:23], v[176:177]
	v_fmac_f64_e32 v[210:211], s[12:13], v[16:17]
	v_fmac_f64_e32 v[10:11], s[12:13], v[16:17]
	v_fma_f64 v[28:29], s[8:9], v[12:13], v[20:21]
	v_add_f64 v[14:15], v[42:43], -v[62:63]
	v_add_f64 v[16:17], v[60:61], -v[92:93]
	v_add_f64 v[22:23], v[134:135], -v[108:109]
	v_fmac_f64_e32 v[20:21], s[16:17], v[12:13]
	v_fmac_f64_e32 v[28:29], s[10:11], v[14:15]
	v_add_f64 v[16:17], v[16:17], v[22:23]
	v_fmac_f64_e32 v[20:21], s[14:15], v[14:15]
	v_fmac_f64_e32 v[28:29], s[12:13], v[16:17]
	;; [unrolled: 1-line block ×3, first 2 shown]
	v_add_f64 v[16:17], v[60:61], v[134:135]
	v_fmac_f64_e32 v[4:5], -0.5, v[16:17]
	v_fma_f64 v[204:205], s[16:17], v[14:15], v[4:5]
	v_fmac_f64_e32 v[4:5], s[8:9], v[14:15]
	v_fmac_f64_e32 v[204:205], s[10:11], v[12:13]
	;; [unrolled: 1-line block ×3, first 2 shown]
	v_add_f64 v[12:13], v[6:7], v[40:41]
	v_add_f64 v[12:13], v[12:13], v[42:43]
	;; [unrolled: 1-line block ×3, first 2 shown]
	v_add_f64 v[16:17], v[92:93], -v[60:61]
	v_add_f64 v[22:23], v[108:109], -v[134:135]
	v_add_f64 v[214:215], v[12:13], v[94:95]
	v_add_f64 v[12:13], v[42:43], v[62:63]
	;; [unrolled: 1-line block ×3, first 2 shown]
	v_fma_f64 v[22:23], -0.5, v[12:13], v[6:7]
	v_add_f64 v[12:13], v[60:61], -v[134:135]
	v_fmac_f64_e32 v[204:205], s[12:13], v[16:17]
	v_fmac_f64_e32 v[4:5], s[12:13], v[16:17]
	v_fma_f64 v[30:31], s[16:17], v[12:13], v[22:23]
	v_add_f64 v[14:15], v[92:93], -v[108:109]
	v_add_f64 v[16:17], v[40:41], -v[42:43]
	;; [unrolled: 1-line block ×3, first 2 shown]
	v_fmac_f64_e32 v[22:23], s[8:9], v[12:13]
	v_fmac_f64_e32 v[30:31], s[14:15], v[14:15]
	v_add_f64 v[16:17], v[16:17], v[24:25]
	v_fmac_f64_e32 v[22:23], s[10:11], v[14:15]
	v_fmac_f64_e32 v[30:31], s[12:13], v[16:17]
	;; [unrolled: 1-line block ×3, first 2 shown]
	v_add_f64 v[16:17], v[40:41], v[94:95]
	v_fmac_f64_e32 v[6:7], -0.5, v[16:17]
	v_fma_f64 v[206:207], s[8:9], v[14:15], v[6:7]
	v_fmac_f64_e32 v[6:7], s[16:17], v[14:15]
	v_fmac_f64_e32 v[206:207], s[14:15], v[12:13]
	;; [unrolled: 1-line block ×3, first 2 shown]
	v_add_f64 v[12:13], v[0:1], v[136:137]
	v_add_f64 v[12:13], v[12:13], v[218:219]
	v_add_f64 v[16:17], v[42:43], -v[40:41]
	v_add_f64 v[24:25], v[62:63], -v[94:95]
	v_add_f64 v[12:13], v[12:13], v[222:223]
	v_fmac_f64_e32 v[110:111], v[26:27], v[188:189]
	v_add_f64 v[16:17], v[16:17], v[24:25]
	v_add_f64 v[24:25], v[12:13], v[18:19]
	;; [unrolled: 1-line block ×3, first 2 shown]
	v_fma_f64 v[12:13], -0.5, v[12:13], v[0:1]
	v_add_f64 v[14:15], v[110:111], -v[220:221]
	v_fmac_f64_e32 v[206:207], s[12:13], v[16:17]
	v_fmac_f64_e32 v[6:7], s[12:13], v[16:17]
	v_fma_f64 v[196:197], s[8:9], v[14:15], v[12:13]
	v_add_f64 v[26:27], v[130:131], -v[216:217]
	v_add_f64 v[16:17], v[136:137], -v[218:219]
	;; [unrolled: 1-line block ×3, first 2 shown]
	v_fmac_f64_e32 v[12:13], s[16:17], v[14:15]
	v_fmac_f64_e32 v[196:197], s[10:11], v[26:27]
	v_add_f64 v[16:17], v[16:17], v[40:41]
	v_fmac_f64_e32 v[12:13], s[14:15], v[26:27]
	v_fmac_f64_e32 v[196:197], s[12:13], v[16:17]
	;; [unrolled: 1-line block ×3, first 2 shown]
	v_add_f64 v[16:17], v[136:137], v[18:19]
	v_fmac_f64_e32 v[0:1], -0.5, v[16:17]
	v_fma_f64 v[16:17], s[16:17], v[26:27], v[0:1]
	v_fmac_f64_e32 v[0:1], s[8:9], v[26:27]
	v_fmac_f64_e32 v[16:17], s[10:11], v[14:15]
	;; [unrolled: 1-line block ×3, first 2 shown]
	v_add_f64 v[14:15], v[2:3], v[110:111]
	v_add_f64 v[14:15], v[14:15], v[130:131]
	v_add_f64 v[40:41], v[218:219], -v[136:137]
	v_add_f64 v[42:43], v[222:223], -v[18:19]
	v_add_f64 v[14:15], v[14:15], v[216:217]
	v_add_f64 v[40:41], v[40:41], v[42:43]
	;; [unrolled: 1-line block ×4, first 2 shown]
	v_fmac_f64_e32 v[16:17], s[12:13], v[40:41]
	v_fmac_f64_e32 v[0:1], s[12:13], v[40:41]
	v_fma_f64 v[14:15], -0.5, v[14:15], v[2:3]
	v_add_f64 v[40:41], v[136:137], -v[18:19]
	v_fma_f64 v[198:199], s[16:17], v[40:41], v[14:15]
	v_add_f64 v[42:43], v[218:219], -v[222:223]
	v_add_f64 v[18:19], v[110:111], -v[130:131]
	;; [unrolled: 1-line block ×3, first 2 shown]
	v_fmac_f64_e32 v[14:15], s[8:9], v[40:41]
	v_fmac_f64_e32 v[198:199], s[14:15], v[42:43]
	v_add_f64 v[18:19], v[18:19], v[44:45]
	v_fmac_f64_e32 v[14:15], s[10:11], v[42:43]
	v_fmac_f64_e32 v[198:199], s[12:13], v[18:19]
	;; [unrolled: 1-line block ×3, first 2 shown]
	v_add_f64 v[18:19], v[110:111], v[220:221]
	v_fmac_f64_e32 v[2:3], -0.5, v[18:19]
	v_fma_f64 v[18:19], s[8:9], v[42:43], v[2:3]
	v_fmac_f64_e32 v[2:3], s[16:17], v[42:43]
	v_fmac_f64_e32 v[18:19], s[14:15], v[40:41]
	;; [unrolled: 1-line block ×3, first 2 shown]
	v_mul_u32_u24_e32 v40, 0xe1, v139
	v_add_lshl_u32 v139, v40, v224, 4
	ds_write_b128 v139, v[36:39]
	ds_write_b128 v139, v[32:35] offset:720
	ds_write_b128 v139, v[208:211] offset:1440
	;; [unrolled: 1-line block ×4, first 2 shown]
	v_mad_legacy_u16 v8, v115, s19, v129
	v_add_f64 v[44:45], v[130:131], -v[110:111]
	v_add_f64 v[46:47], v[216:217], -v[220:221]
	v_lshlrev_b32_e32 v115, 4, v8
	v_add_f64 v[44:45], v[44:45], v[46:47]
	ds_write_b128 v115, v[212:215]
	ds_write_b128 v115, v[28:31] offset:720
	ds_write_b128 v115, v[204:207] offset:1440
	;; [unrolled: 1-line block ×4, first 2 shown]
	v_mad_legacy_u16 v4, v114, s19, v123
	v_fmac_f64_e32 v[18:19], s[12:13], v[44:45]
	v_fmac_f64_e32 v[2:3], s[12:13], v[44:45]
	v_lshlrev_b32_e32 v114, 4, v4
	v_lshlrev_b32_e32 v52, 5, v112
	ds_write_b128 v114, v[24:27]
	ds_write_b128 v114, v[196:199] offset:720
	ds_write_b128 v114, v[16:19] offset:1440
	;; [unrolled: 1-line block ×4, first 2 shown]
	s_waitcnt lgkmcnt(0)
	s_barrier
	ds_read_b128 v[16:19], v156
	ds_read_b128 v[56:59], v156 offset:10800
	ds_read_b128 v[108:111], v156 offset:21600
	;; [unrolled: 1-line block ×14, first 2 shown]
	global_load_dwordx4 v[196:199], v52, s[6:7] offset:3568
	global_load_dwordx4 v[200:203], v52, s[6:7] offset:3552
	v_mov_b32_e32 v53, v157
	v_lshl_add_u64 v[60:61], s[6:7], 0, v[52:53]
	s_movk_i32 s19, 0x5a
	v_cmp_gt_u16_e32 vcc, s19, v112
	s_waitcnt vmcnt(0) lgkmcnt(13)
	v_mul_f64 v[52:53], v[58:59], v[202:203]
	v_fma_f64 v[54:55], v[56:57], v[200:201], -v[52:53]
	s_waitcnt lgkmcnt(12)
	v_mul_f64 v[52:53], v[110:111], v[198:199]
	v_fma_f64 v[130:131], v[108:109], v[196:197], -v[52:53]
	v_lshl_add_u64 v[52:53], v[112:113], 0, s[22:23]
	v_cndmask_b32_e32 v63, v53, v121, vcc
	v_cndmask_b32_e32 v62, v52, v120, vcc
	v_lshlrev_b64 v[52:53], 5, v[62:63]
	v_lshl_add_u64 v[52:53], s[6:7], 0, v[52:53]
	global_load_dwordx4 v[204:207], v[52:53], off offset:3568
	global_load_dwordx4 v[208:211], v[52:53], off offset:3552
	v_mul_f64 v[108:109], v[108:109], v[198:199]
	v_fmac_f64_e32 v[108:109], v[110:111], v[196:197]
	s_mov_b64 s[22:23], 0x1380
	v_mul_f64 v[92:93], v[56:57], v[202:203]
	v_fmac_f64_e32 v[92:93], v[58:59], v[200:201]
	s_waitcnt vmcnt(1) lgkmcnt(9)
	v_mul_f64 v[236:237], v[44:45], v[206:207]
	s_waitcnt vmcnt(0)
	v_mul_f64 v[52:53], v[50:51], v[210:211]
	v_fma_f64 v[110:111], v[48:49], v[208:209], -v[52:53]
	v_mul_f64 v[134:135], v[48:49], v[210:211]
	v_mul_f64 v[48:49], v[46:47], v[206:207]
	v_fmac_f64_e32 v[236:237], v[46:47], v[204:205]
	v_add_co_u32_e32 v46, vcc, s18, v60
	v_fma_f64 v[136:137], v[44:45], v[204:205], -v[48:49]
	s_nop 0
	v_addc_co_u32_e32 v47, vcc, 0, v61, vcc
	v_lshl_add_u64 v[44:45], v[60:61], 0, s[22:23]
	global_load_dwordx4 v[216:219], v[46:47], off offset:896
	global_load_dwordx4 v[212:215], v[44:45], off offset:16
	s_mov_b32 s18, 0x91a3
	v_fmac_f64_e32 v[134:135], v[50:51], v[208:209]
	s_waitcnt vmcnt(1) lgkmcnt(7)
	v_mul_f64 v[44:45], v[42:43], v[218:219]
	v_fma_f64 v[238:239], v[40:41], v[216:217], -v[44:45]
	v_mul_f64 v[240:241], v[40:41], v[218:219]
	s_waitcnt vmcnt(0) lgkmcnt(6)
	v_mul_f64 v[40:41], v[38:39], v[214:215]
	v_fma_f64 v[242:243], v[36:37], v[212:213], -v[40:41]
	v_mul_f64 v[244:245], v[36:37], v[214:215]
	v_mul_u32_u24_sdwa v36, v128, s18 dst_sel:DWORD dst_unused:UNUSED_PAD src0_sel:WORD_0 src1_sel:DWORD
	v_lshrrev_b32_e32 v113, 23, v36
	v_mul_lo_u16_e32 v36, 0xe1, v113
	v_sub_u16_e32 v121, v128, v36
	v_lshlrev_b16_e32 v36, 5, v121
	v_mov_b32_e32 v37, v157
	v_lshl_add_u64 v[36:37], s[6:7], 0, v[36:37]
	global_load_dwordx4 v[220:223], v[36:37], off offset:3568
	global_load_dwordx4 v[224:227], v[36:37], off offset:3552
	v_fmac_f64_e32 v[240:241], v[42:43], v[216:217]
	v_fmac_f64_e32 v[244:245], v[38:39], v[212:213]
	s_waitcnt vmcnt(1) lgkmcnt(3)
	v_mul_f64 v[252:253], v[28:29], v[222:223]
	s_waitcnt vmcnt(0)
	v_mul_f64 v[36:37], v[34:35], v[226:227]
	v_fma_f64 v[246:247], v[32:33], v[224:225], -v[36:37]
	v_mul_f64 v[248:249], v[32:33], v[226:227]
	v_mul_f64 v[32:33], v[30:31], v[222:223]
	v_fma_f64 v[250:251], v[28:29], v[220:221], -v[32:33]
	v_mul_u32_u24_sdwa v28, v138, s18 dst_sel:DWORD dst_unused:UNUSED_PAD src0_sel:WORD_0 src1_sel:DWORD
	v_lshrrev_b32_e32 v28, 23, v28
	v_mul_lo_u16_e32 v28, 0xe1, v28
	v_sub_u16_e32 v63, v138, v28
	v_lshlrev_b16_e32 v28, 5, v63
	v_mov_b32_e32 v29, v157
	v_lshl_add_u64 v[28:29], s[6:7], 0, v[28:29]
	global_load_dwordx4 v[228:231], v[28:29], off offset:3568
	global_load_dwordx4 v[232:235], v[28:29], off offset:3552
	v_fmac_f64_e32 v[248:249], v[34:35], v[224:225]
	v_fmac_f64_e32 v[252:253], v[30:31], v[220:221]
	s_movk_i32 s18, 0x59
	s_waitcnt lgkmcnt(0)
	s_barrier
	v_cmp_lt_u16_e32 vcc, s18, v112
	s_movk_i32 s18, 0x2a3
	s_waitcnt vmcnt(0)
	v_mul_f64 v[28:29], v[26:27], v[234:235]
	v_fma_f64 v[254:255], v[24:25], v[232:233], -v[28:29]
	v_mul_f64 v[94:95], v[24:25], v[234:235]
	v_mul_f64 v[24:25], v[22:23], v[230:231]
	v_fmac_f64_e32 v[94:95], v[26:27], v[232:233]
	v_fma_f64 v[24:25], v[20:21], v[228:229], -v[24:25]
	v_mul_f64 v[26:27], v[20:21], v[230:231]
	v_add_f64 v[20:21], v[16:17], v[54:55]
	v_add_f64 v[56:57], v[20:21], v[130:131]
	v_add_f64 v[20:21], v[54:55], v[130:131]
	v_fmac_f64_e32 v[16:17], -0.5, v[20:21]
	v_add_f64 v[20:21], v[92:93], -v[108:109]
	v_fma_f64 v[52:53], s[2:3], v[20:21], v[16:17]
	v_fmac_f64_e32 v[16:17], s[4:5], v[20:21]
	v_add_f64 v[20:21], v[18:19], v[92:93]
	v_add_f64 v[58:59], v[20:21], v[108:109]
	v_add_f64 v[20:21], v[92:93], v[108:109]
	v_fmac_f64_e32 v[18:19], -0.5, v[20:21]
	v_add_f64 v[20:21], v[54:55], -v[130:131]
	v_fma_f64 v[54:55], s[4:5], v[20:21], v[18:19]
	v_fmac_f64_e32 v[18:19], s[2:3], v[20:21]
	;; [unrolled: 7-line block ×7, first 2 shown]
	v_add_f64 v[20:21], v[6:7], v[248:249]
	v_add_f64 v[34:35], v[20:21], v[252:253]
	;; [unrolled: 1-line block ×3, first 2 shown]
	v_fmac_f64_e32 v[6:7], -0.5, v[20:21]
	v_add_f64 v[20:21], v[246:247], -v[250:251]
	ds_write_b128 v156, v[56:59]
	ds_write_b128 v156, v[52:55] offset:3600
	ds_write_b128 v156, v[16:19] offset:7200
	v_mov_b32_e32 v16, 0x2a3
	v_fma_f64 v[30:31], s[4:5], v[20:21], v[6:7]
	v_fmac_f64_e32 v[6:7], s[2:3], v[20:21]
	v_add_f64 v[20:21], v[0:1], v[254:255]
	v_cndmask_b32_e32 v16, 0, v16, vcc
	v_fmac_f64_e32 v[26:27], v[22:23], v[228:229]
	v_add_f64 v[108:109], v[20:21], v[24:25]
	v_add_f64 v[20:21], v[254:255], v[24:25]
	v_add_lshl_u32 v16, v62, v16, 4
	v_fmac_f64_e32 v[0:1], -0.5, v[20:21]
	v_add_f64 v[22:23], v[94:95], -v[26:27]
	ds_write_b128 v16, v[48:51]
	ds_write_b128 v16, v[44:47] offset:3600
	ds_write_b128 v16, v[12:15] offset:7200
	;; [unrolled: 1-line block ×5, first 2 shown]
	v_mad_legacy_u16 v8, v113, s18, v121
	s_mov_b64 s[18:19], 0x2a00
	v_add_co_u32_e32 v58, vcc, s20, v60
	v_fma_f64 v[20:21], s[2:3], v[22:23], v[0:1]
	v_fmac_f64_e32 v[0:1], s[4:5], v[22:23]
	v_add_f64 v[22:23], v[2:3], v[94:95]
	v_lshl_add_u64 v[52:53], v[60:61], 0, s[18:19]
	v_addc_co_u32_e32 v59, vcc, 0, v61, vcc
	v_lshlrev_b32_e32 v60, 5, v120
	v_mov_b32_e32 v61, v157
	v_add_f64 v[110:111], v[22:23], v[26:27]
	v_add_f64 v[22:23], v[94:95], v[26:27]
	v_lshl_add_u64 v[60:61], s[6:7], 0, v[60:61]
	v_fmac_f64_e32 v[2:3], -0.5, v[22:23]
	v_add_f64 v[24:25], v[254:255], -v[24:25]
	v_lshlrev_b32_e32 v113, 4, v63
	v_lshl_add_u64 v[62:63], v[60:61], 0, s[18:19]
	v_add_co_u32_e32 v60, vcc, s20, v60
	v_fma_f64 v[22:23], s[4:5], v[24:25], v[2:3]
	v_fmac_f64_e32 v[2:3], s[2:3], v[24:25]
	v_lshlrev_b32_e32 v8, 4, v8
	v_addc_co_u32_e32 v61, vcc, 0, v61, vcc
	v_accvgpr_write_b32 a132, v16
	ds_write_b128 v8, v[32:35]
	ds_write_b128 v8, v[28:31] offset:3600
	ds_write_b128 v8, v[4:7] offset:7200
	v_accvgpr_write_b32 a133, v8
	ds_write_b128 v113, v[108:111] offset:21600
	ds_write_b128 v113, v[20:23] offset:25200
	;; [unrolled: 1-line block ×3, first 2 shown]
	s_waitcnt lgkmcnt(0)
	s_barrier
	ds_read_b128 v[0:3], v156
	ds_read_b128 v[54:57], v156 offset:10800
	ds_read_b128 v[92:95], v156 offset:21600
	;; [unrolled: 1-line block ×14, first 2 shown]
	global_load_dwordx4 v[240:243], v[58:59], off offset:2560
	global_load_dwordx4 v[236:239], v[52:53], off offset:16
	;; [unrolled: 1-line block ×4, first 2 shown]
	s_waitcnt vmcnt(3) lgkmcnt(13)
	v_mul_f64 v[52:53], v[56:57], v[242:243]
	s_waitcnt vmcnt(1) lgkmcnt(10)
	v_mul_f64 v[60:61], v[50:51], v[250:251]
	v_fma_f64 v[60:61], v[48:49], v[248:249], -v[60:61]
	v_mul_f64 v[48:49], v[48:49], v[250:251]
	v_fmac_f64_e32 v[48:49], v[50:51], v[248:249]
	s_waitcnt vmcnt(0) lgkmcnt(9)
	v_mul_f64 v[50:51], v[46:47], v[246:247]
	v_fma_f64 v[50:51], v[44:45], v[244:245], -v[50:51]
	v_mul_f64 v[44:45], v[44:45], v[246:247]
	v_fmac_f64_e32 v[44:45], v[46:47], v[244:245]
	v_lshlrev_b32_e32 v46, 5, v122
	v_mov_b32_e32 v47, v157
	v_lshl_add_u64 v[46:47], s[6:7], 0, v[46:47]
	v_lshl_add_u64 v[62:63], v[46:47], 0, s[18:19]
	v_add_co_u32_e32 v46, vcc, s20, v46
	v_fma_f64 v[52:53], v[54:55], v[240:241], -v[52:53]
	s_nop 0
	v_addc_co_u32_e32 v47, vcc, 0, v47, vcc
	global_load_dwordx4 v[134:137], v[46:47], off offset:2560
	global_load_dwordx4 v[252:255], v[62:63], off offset:16
	v_mul_f64 v[54:55], v[54:55], v[242:243]
	v_fmac_f64_e32 v[54:55], v[56:57], v[240:241]
	v_mul_f64 v[56:57], v[94:95], v[238:239]
	v_mul_f64 v[58:59], v[92:93], v[238:239]
	v_fma_f64 v[56:57], v[92:93], v[236:237], -v[56:57]
	v_fmac_f64_e32 v[58:59], v[94:95], v[236:237]
	s_waitcnt vmcnt(1) lgkmcnt(7)
	v_mul_f64 v[46:47], v[42:43], v[136:137]
	v_fma_f64 v[46:47], v[40:41], v[134:135], -v[46:47]
	v_mul_f64 v[62:63], v[40:41], v[136:137]
	s_waitcnt vmcnt(0) lgkmcnt(6)
	v_mul_f64 v[40:41], v[38:39], v[254:255]
	v_fmac_f64_e32 v[62:63], v[42:43], v[134:135]
	v_fma_f64 v[42:43], v[36:37], v[252:253], -v[40:41]
	v_mul_f64 v[132:133], v[36:37], v[254:255]
	v_lshlrev_b32_e32 v36, 5, v128
	v_mov_b32_e32 v37, v157
	v_lshl_add_u64 v[36:37], s[6:7], 0, v[36:37]
	v_fmac_f64_e32 v[132:133], v[38:39], v[252:253]
	v_lshl_add_u64 v[38:39], v[36:37], 0, s[18:19]
	v_add_co_u32_e32 v36, vcc, s20, v36
	s_nop 1
	v_addc_co_u32_e32 v37, vcc, 0, v37, vcc
	global_load_dwordx4 v[120:123], v[36:37], off offset:2560
	global_load_dwordx4 v[128:131], v[38:39], off offset:16
	v_add_f64 v[38:39], v[46:47], v[42:43]
	s_waitcnt vmcnt(1) lgkmcnt(4)
	v_mul_f64 v[36:37], v[34:35], v[122:123]
	v_fma_f64 v[142:143], v[32:33], v[120:121], -v[36:37]
	v_mul_f64 v[140:141], v[32:33], v[122:123]
	s_waitcnt vmcnt(0) lgkmcnt(3)
	v_mul_f64 v[32:33], v[30:31], v[130:131]
	v_fma_f64 v[146:147], v[28:29], v[128:129], -v[32:33]
	v_mul_f64 v[144:145], v[28:29], v[130:131]
	v_lshlrev_b32_e32 v28, 5, v138
	v_mov_b32_e32 v29, v157
	v_lshl_add_u64 v[28:29], s[6:7], 0, v[28:29]
	v_fmac_f64_e32 v[144:145], v[30:31], v[128:129]
	v_lshl_add_u64 v[30:31], v[28:29], 0, s[18:19]
	v_add_co_u32_e32 v28, vcc, s20, v28
	v_fmac_f64_e32 v[140:141], v[34:35], v[120:121]
	s_nop 0
	v_addc_co_u32_e32 v29, vcc, 0, v29, vcc
	global_load_dwordx4 v[92:95], v[28:29], off offset:2560
	global_load_dwordx4 v[108:111], v[30:31], off offset:16
	v_add_f64 v[34:35], v[48:49], v[44:45]
	v_add_f64 v[36:37], v[60:61], -v[50:51]
	s_mov_b64 s[6:7], 0x7e90
	s_waitcnt vmcnt(1) lgkmcnt(1)
	v_mul_f64 v[28:29], v[26:27], v[94:95]
	s_waitcnt vmcnt(0) lgkmcnt(0)
	v_mul_f64 v[152:153], v[20:21], v[110:111]
	v_fma_f64 v[150:151], v[24:25], v[92:93], -v[28:29]
	v_mul_f64 v[148:149], v[24:25], v[94:95]
	v_mul_f64 v[24:25], v[22:23], v[110:111]
	v_fmac_f64_e32 v[152:153], v[22:23], v[108:109]
	v_add_f64 v[22:23], v[52:53], v[56:57]
	v_fma_f64 v[154:155], v[20:21], v[108:109], -v[24:25]
	v_add_f64 v[20:21], v[0:1], v[52:53]
	v_fmac_f64_e32 v[0:1], -0.5, v[22:23]
	v_add_f64 v[22:23], v[54:55], -v[58:59]
	v_add_f64 v[24:25], v[54:55], v[58:59]
	v_fmac_f64_e32 v[148:149], v[26:27], v[92:93]
	v_fma_f64 v[28:29], s[2:3], v[22:23], v[0:1]
	v_fmac_f64_e32 v[0:1], s[4:5], v[22:23]
	v_add_f64 v[22:23], v[2:3], v[54:55]
	v_fmac_f64_e32 v[2:3], -0.5, v[24:25]
	v_add_f64 v[24:25], v[52:53], -v[56:57]
	v_add_f64 v[26:27], v[60:61], v[50:51]
	v_fma_f64 v[30:31], s[4:5], v[24:25], v[2:3]
	v_fmac_f64_e32 v[2:3], s[2:3], v[24:25]
	v_add_f64 v[24:25], v[4:5], v[60:61]
	v_fmac_f64_e32 v[4:5], -0.5, v[26:27]
	v_add_f64 v[26:27], v[48:49], -v[44:45]
	v_fma_f64 v[32:33], s[2:3], v[26:27], v[4:5]
	v_fmac_f64_e32 v[4:5], s[4:5], v[26:27]
	v_add_f64 v[26:27], v[6:7], v[48:49]
	v_fmac_f64_e32 v[6:7], -0.5, v[34:35]
	v_add_f64 v[26:27], v[26:27], v[44:45]
	v_fma_f64 v[34:35], s[4:5], v[36:37], v[6:7]
	v_fmac_f64_e32 v[6:7], s[2:3], v[36:37]
	v_add_f64 v[36:37], v[8:9], v[46:47]
	v_fmac_f64_e32 v[8:9], -0.5, v[38:39]
	v_add_f64 v[38:39], v[62:63], -v[132:133]
	v_add_f64 v[44:45], v[62:63], v[132:133]
	v_fma_f64 v[40:41], s[2:3], v[38:39], v[8:9]
	v_fmac_f64_e32 v[8:9], s[4:5], v[38:39]
	v_add_f64 v[38:39], v[10:11], v[62:63]
	v_fmac_f64_e32 v[10:11], -0.5, v[44:45]
	v_add_f64 v[44:45], v[46:47], -v[42:43]
	v_add_f64 v[46:47], v[142:143], v[146:147]
	v_add_f64 v[24:25], v[24:25], v[50:51]
	;; [unrolled: 1-line block ×3, first 2 shown]
	v_fma_f64 v[42:43], s[4:5], v[44:45], v[10:11]
	v_fmac_f64_e32 v[10:11], s[2:3], v[44:45]
	v_add_f64 v[44:45], v[12:13], v[142:143]
	v_fmac_f64_e32 v[12:13], -0.5, v[46:47]
	v_add_f64 v[46:47], v[140:141], -v[144:145]
	v_add_f64 v[50:51], v[140:141], v[144:145]
	v_fma_f64 v[48:49], s[2:3], v[46:47], v[12:13]
	v_fmac_f64_e32 v[12:13], s[4:5], v[46:47]
	v_add_f64 v[46:47], v[14:15], v[140:141]
	v_fmac_f64_e32 v[14:15], -0.5, v[50:51]
	v_add_f64 v[52:53], v[142:143], -v[146:147]
	v_add_f64 v[54:55], v[150:151], v[154:155]
	v_add_f64 v[22:23], v[22:23], v[58:59]
	v_fma_f64 v[50:51], s[4:5], v[52:53], v[14:15]
	v_fmac_f64_e32 v[14:15], s[2:3], v[52:53]
	v_add_f64 v[52:53], v[16:17], v[150:151]
	v_fmac_f64_e32 v[16:17], -0.5, v[54:55]
	v_add_f64 v[54:55], v[148:149], -v[152:153]
	v_add_f64 v[58:59], v[148:149], v[152:153]
	;; [unrolled: 7-line block ×3, first 2 shown]
	v_add_f64 v[44:45], v[44:45], v[146:147]
	v_add_f64 v[46:47], v[46:47], v[144:145]
	;; [unrolled: 1-line block ×4, first 2 shown]
	v_fma_f64 v[58:59], s[4:5], v[60:61], v[18:19]
	v_fmac_f64_e32 v[18:19], s[2:3], v[60:61]
	ds_write_b128 v156, v[20:23]
	ds_write_b128 v156, v[28:31] offset:10800
	ds_write_b128 v156, v[0:3] offset:21600
	;; [unrolled: 1-line block ×14, first 2 shown]
	s_waitcnt lgkmcnt(0)
	s_barrier
	global_load_dwordx4 v[4:7], v[66:67], off offset:3728
	ds_read_b128 v[0:3], v156
	v_lshl_add_u64 v[14:15], v[64:65], 0, s[6:7]
	s_mov_b32 s6, 0xa000
	s_waitcnt vmcnt(0) lgkmcnt(0)
	v_mul_f64 v[8:9], v[2:3], v[6:7]
	v_mul_f64 v[10:11], v[0:1], v[6:7]
	v_fma_f64 v[8:9], v[0:1], v[4:5], -v[8:9]
	v_fmac_f64_e32 v[10:11], v[2:3], v[4:5]
	v_add_co_u32_e32 v4, vcc, s6, v64
	ds_write_b128 v156, v[8:11]
	s_nop 0
	v_addc_co_u32_e32 v5, vcc, 0, v65, vcc
	global_load_dwordx4 v[6:9], v[4:5], off offset:2240
	ds_read_b128 v[0:3], v156 offset:10800
	s_mov_b32 s6, 0xd000
	v_add_co_u32_e32 v16, vcc, s6, v64
	s_mov_b32 s6, 0xb000
	s_nop 0
	v_addc_co_u32_e32 v17, vcc, 0, v65, vcc
	s_waitcnt vmcnt(0) lgkmcnt(0)
	v_mul_f64 v[10:11], v[2:3], v[8:9]
	v_mul_f64 v[12:13], v[0:1], v[8:9]
	v_fma_f64 v[10:11], v[0:1], v[6:7], -v[10:11]
	v_fmac_f64_e32 v[12:13], v[2:3], v[6:7]
	global_load_dwordx4 v[6:9], v[16:17], off offset:752
	ds_read_b128 v[0:3], v156 offset:21600
	ds_write_b128 v156, v[10:13] offset:10800
	s_waitcnt vmcnt(0) lgkmcnt(1)
	v_mul_f64 v[10:11], v[2:3], v[8:9]
	v_mul_f64 v[12:13], v[0:1], v[8:9]
	v_fma_f64 v[10:11], v[0:1], v[6:7], -v[10:11]
	v_fmac_f64_e32 v[12:13], v[2:3], v[6:7]
	global_load_dwordx4 v[6:9], v[14:15], off offset:2160
	ds_read_b128 v[0:3], v156 offset:2160
	v_add_co_u32_e32 v14, vcc, s6, v64
	ds_write_b128 v156, v[10:13] offset:21600
	s_nop 0
	v_addc_co_u32_e32 v15, vcc, 0, v65, vcc
	s_mov_b32 s6, 0x8000
	s_waitcnt vmcnt(0) lgkmcnt(1)
	v_mul_f64 v[10:11], v[2:3], v[8:9]
	v_mul_f64 v[12:13], v[0:1], v[8:9]
	v_fma_f64 v[10:11], v[0:1], v[6:7], -v[10:11]
	v_fmac_f64_e32 v[12:13], v[2:3], v[6:7]
	global_load_dwordx4 v[6:9], v[14:15], off offset:304
	ds_read_b128 v[0:3], v156 offset:12960
	ds_write_b128 v156, v[10:13] offset:2160
	s_waitcnt vmcnt(0) lgkmcnt(1)
	v_mul_f64 v[10:11], v[2:3], v[8:9]
	v_mul_f64 v[12:13], v[0:1], v[8:9]
	v_fma_f64 v[10:11], v[0:1], v[6:7], -v[10:11]
	v_fmac_f64_e32 v[12:13], v[2:3], v[6:7]
	global_load_dwordx4 v[6:9], v[16:17], off offset:2912
	ds_read_b128 v[0:3], v156 offset:23760
	ds_write_b128 v156, v[10:13] offset:12960
	s_waitcnt vmcnt(0) lgkmcnt(1)
	v_mul_f64 v[10:11], v[2:3], v[8:9]
	v_mul_f64 v[12:13], v[0:1], v[8:9]
	v_fma_f64 v[10:11], v[0:1], v[6:7], -v[10:11]
	v_fmac_f64_e32 v[12:13], v[2:3], v[6:7]
	v_add_co_u32_e32 v6, vcc, s6, v64
	ds_read_b128 v[0:3], v156 offset:4320
	s_nop 0
	v_addc_co_u32_e32 v7, vcc, 0, v65, vcc
	global_load_dwordx4 v[6:9], v[6:7], off offset:3952
	ds_write_b128 v156, v[10:13] offset:23760
	s_mov_b32 s6, 0xe000
	v_add_co_u32_e32 v16, vcc, s6, v64
	s_mov_b32 s6, 0x9000
	s_nop 0
	v_addc_co_u32_e32 v17, vcc, 0, v65, vcc
	s_waitcnt vmcnt(0) lgkmcnt(1)
	v_mul_f64 v[10:11], v[2:3], v[8:9]
	v_mul_f64 v[12:13], v[0:1], v[8:9]
	v_fma_f64 v[10:11], v[0:1], v[6:7], -v[10:11]
	v_fmac_f64_e32 v[12:13], v[2:3], v[6:7]
	global_load_dwordx4 v[6:9], v[14:15], off offset:2464
	ds_read_b128 v[0:3], v156 offset:15120
	ds_write_b128 v156, v[10:13] offset:4320
	s_waitcnt vmcnt(0) lgkmcnt(1)
	v_mul_f64 v[10:11], v[2:3], v[8:9]
	v_mul_f64 v[12:13], v[0:1], v[8:9]
	v_fma_f64 v[10:11], v[0:1], v[6:7], -v[10:11]
	v_fmac_f64_e32 v[12:13], v[2:3], v[6:7]
	global_load_dwordx4 v[6:9], v[16:17], off offset:976
	ds_read_b128 v[0:3], v156 offset:25920
	ds_write_b128 v156, v[10:13] offset:15120
	s_waitcnt vmcnt(0) lgkmcnt(1)
	v_mul_f64 v[10:11], v[2:3], v[8:9]
	v_mul_f64 v[12:13], v[0:1], v[8:9]
	v_fma_f64 v[10:11], v[0:1], v[6:7], -v[10:11]
	v_fmac_f64_e32 v[12:13], v[2:3], v[6:7]
	v_add_co_u32_e32 v6, vcc, s6, v64
	ds_read_b128 v[0:3], v156 offset:6480
	s_nop 0
	v_addc_co_u32_e32 v7, vcc, 0, v65, vcc
	global_load_dwordx4 v[6:9], v[6:7], off offset:2016
	ds_write_b128 v156, v[10:13] offset:25920
	s_mov_b32 s6, 0xc000
	s_waitcnt vmcnt(0) lgkmcnt(1)
	v_mul_f64 v[10:11], v[2:3], v[8:9]
	v_mul_f64 v[12:13], v[0:1], v[8:9]
	v_fma_f64 v[10:11], v[0:1], v[6:7], -v[10:11]
	v_fmac_f64_e32 v[12:13], v[2:3], v[6:7]
	v_add_co_u32_e32 v6, vcc, s6, v64
	ds_write_b128 v156, v[10:13] offset:6480
	s_nop 0
	v_addc_co_u32_e32 v7, vcc, 0, v65, vcc
	global_load_dwordx4 v[8:11], v[6:7], off offset:528
	ds_read_b128 v[0:3], v156 offset:17280
	s_mov_b32 s6, 0xf000
	s_waitcnt vmcnt(0) lgkmcnt(0)
	v_mul_f64 v[12:13], v[2:3], v[10:11]
	v_mul_f64 v[14:15], v[0:1], v[10:11]
	v_fma_f64 v[12:13], v[0:1], v[8:9], -v[12:13]
	v_fmac_f64_e32 v[14:15], v[2:3], v[8:9]
	global_load_dwordx4 v[8:11], v[16:17], off offset:3136
	ds_read_b128 v[0:3], v156 offset:28080
	ds_write_b128 v156, v[12:15] offset:17280
	s_waitcnt vmcnt(0) lgkmcnt(1)
	v_mul_f64 v[12:13], v[2:3], v[10:11]
	v_mul_f64 v[14:15], v[0:1], v[10:11]
	v_fma_f64 v[12:13], v[0:1], v[8:9], -v[12:13]
	v_fmac_f64_e32 v[14:15], v[2:3], v[8:9]
	global_load_dwordx4 v[8:11], v[4:5], off offset:80
	ds_read_b128 v[0:3], v156 offset:8640
	ds_write_b128 v156, v[12:15] offset:28080
	s_waitcnt vmcnt(0) lgkmcnt(1)
	v_mul_f64 v[4:5], v[2:3], v[10:11]
	v_fma_f64 v[12:13], v[0:1], v[8:9], -v[4:5]
	global_load_dwordx4 v[4:7], v[6:7], off offset:2688
	v_mul_f64 v[14:15], v[0:1], v[10:11]
	v_fmac_f64_e32 v[14:15], v[2:3], v[8:9]
	ds_read_b128 v[0:3], v156 offset:19440
	ds_write_b128 v156, v[12:15] offset:8640
	s_waitcnt vmcnt(0) lgkmcnt(1)
	v_mul_f64 v[8:9], v[2:3], v[6:7]
	v_mul_f64 v[10:11], v[0:1], v[6:7]
	v_fma_f64 v[8:9], v[0:1], v[4:5], -v[8:9]
	v_fmac_f64_e32 v[10:11], v[2:3], v[4:5]
	v_add_co_u32_e32 v4, vcc, s6, v64
	ds_read_b128 v[0:3], v156 offset:30240
	s_nop 0
	v_addc_co_u32_e32 v5, vcc, 0, v65, vcc
	global_load_dwordx4 v[4:7], v[4:5], off offset:1200
	ds_write_b128 v156, v[8:11] offset:19440
	s_waitcnt vmcnt(0) lgkmcnt(1)
	v_mul_f64 v[8:9], v[2:3], v[6:7]
	v_mul_f64 v[10:11], v[0:1], v[6:7]
	v_fma_f64 v[8:9], v[0:1], v[4:5], -v[8:9]
	v_fmac_f64_e32 v[10:11], v[2:3], v[4:5]
	ds_write_b128 v156, v[8:11] offset:30240
	s_waitcnt lgkmcnt(0)
	s_barrier
	ds_read_b128 v[16:19], v156
	ds_read_b128 v[52:55], v156 offset:10800
	ds_read_b128 v[56:59], v156 offset:21600
	;; [unrolled: 1-line block ×14, first 2 shown]
	s_waitcnt lgkmcnt(12)
	v_add_f64 v[62:63], v[52:53], v[56:57]
	v_add_f64 v[60:61], v[16:17], v[52:53]
	v_fmac_f64_e32 v[16:17], -0.5, v[62:63]
	v_add_f64 v[62:63], v[54:55], -v[58:59]
	v_fma_f64 v[64:65], s[4:5], v[62:63], v[16:17]
	v_fmac_f64_e32 v[16:17], s[2:3], v[62:63]
	v_add_f64 v[62:63], v[18:19], v[54:55]
	v_add_f64 v[54:55], v[54:55], v[58:59]
	v_fmac_f64_e32 v[18:19], -0.5, v[54:55]
	v_add_f64 v[52:53], v[52:53], -v[56:57]
	v_fma_f64 v[66:67], s[2:3], v[52:53], v[18:19]
	v_fmac_f64_e32 v[18:19], s[4:5], v[52:53]
	s_waitcnt lgkmcnt(10)
	v_add_f64 v[52:53], v[12:13], v[36:37]
	v_add_f64 v[60:61], v[60:61], v[56:57]
	s_waitcnt lgkmcnt(9)
	v_add_f64 v[56:57], v[52:53], v[0:1]
	v_add_f64 v[52:53], v[36:37], v[0:1]
	v_fmac_f64_e32 v[12:13], -0.5, v[52:53]
	v_add_f64 v[54:55], v[38:39], -v[2:3]
	v_fma_f64 v[52:53], s[4:5], v[54:55], v[12:13]
	v_fmac_f64_e32 v[12:13], s[2:3], v[54:55]
	v_add_f64 v[54:55], v[14:15], v[38:39]
	v_add_f64 v[62:63], v[62:63], v[58:59]
	;; [unrolled: 1-line block ×4, first 2 shown]
	v_fmac_f64_e32 v[14:15], -0.5, v[2:3]
	v_add_f64 v[0:1], v[36:37], -v[0:1]
	s_waitcnt lgkmcnt(6)
	v_add_f64 v[2:3], v[40:41], v[44:45]
	v_fma_f64 v[54:55], s[2:3], v[0:1], v[14:15]
	v_fmac_f64_e32 v[14:15], s[4:5], v[0:1]
	v_add_f64 v[0:1], v[8:9], v[40:41]
	v_fmac_f64_e32 v[8:9], -0.5, v[2:3]
	v_add_f64 v[2:3], v[42:43], -v[46:47]
	v_add_f64 v[38:39], v[42:43], v[46:47]
	v_fma_f64 v[36:37], s[4:5], v[2:3], v[8:9]
	v_fmac_f64_e32 v[8:9], s[2:3], v[2:3]
	v_add_f64 v[2:3], v[10:11], v[42:43]
	v_fmac_f64_e32 v[10:11], -0.5, v[38:39]
	v_add_f64 v[40:41], v[40:41], -v[44:45]
	s_waitcnt lgkmcnt(3)
	v_add_f64 v[42:43], v[28:29], v[32:33]
	v_fma_f64 v[38:39], s[2:3], v[40:41], v[10:11]
	v_fmac_f64_e32 v[10:11], s[4:5], v[40:41]
	v_add_f64 v[40:41], v[4:5], v[28:29]
	v_fmac_f64_e32 v[4:5], -0.5, v[42:43]
	v_add_f64 v[42:43], v[30:31], -v[34:35]
	v_add_f64 v[0:1], v[0:1], v[44:45]
	v_fma_f64 v[44:45], s[4:5], v[42:43], v[4:5]
	v_fmac_f64_e32 v[4:5], s[2:3], v[42:43]
	v_add_f64 v[42:43], v[6:7], v[30:31]
	v_add_f64 v[30:31], v[30:31], v[34:35]
	v_fmac_f64_e32 v[6:7], -0.5, v[30:31]
	v_add_f64 v[28:29], v[28:29], -v[32:33]
	s_waitcnt lgkmcnt(0)
	v_add_f64 v[30:31], v[48:49], v[24:25]
	v_add_f64 v[2:3], v[2:3], v[46:47]
	v_fma_f64 v[46:47], s[2:3], v[28:29], v[6:7]
	v_fmac_f64_e32 v[6:7], s[4:5], v[28:29]
	v_add_f64 v[28:29], v[20:21], v[48:49]
	v_fmac_f64_e32 v[20:21], -0.5, v[30:31]
	v_add_f64 v[30:31], v[50:51], -v[26:27]
	v_add_f64 v[40:41], v[40:41], v[32:33]
	v_fma_f64 v[32:33], s[4:5], v[30:31], v[20:21]
	v_fmac_f64_e32 v[20:21], s[2:3], v[30:31]
	v_add_f64 v[30:31], v[22:23], v[50:51]
	v_add_f64 v[30:31], v[30:31], v[26:27]
	;; [unrolled: 1-line block ×4, first 2 shown]
	v_fmac_f64_e32 v[22:23], -0.5, v[26:27]
	v_add_f64 v[24:25], v[48:49], -v[24:25]
	v_add_f64 v[42:43], v[42:43], v[34:35]
	v_fma_f64 v[34:35], s[2:3], v[24:25], v[22:23]
	v_fmac_f64_e32 v[22:23], s[4:5], v[24:25]
	v_accvgpr_read_b32 v24, a71
	s_barrier
	ds_write_b128 v24, v[60:63]
	ds_write_b128 v24, v[64:67] offset:16
	ds_write_b128 v24, v[16:19] offset:32
	v_accvgpr_read_b32 v16, a81
	ds_write_b128 v16, v[56:59]
	ds_write_b128 v16, v[52:55] offset:16
	ds_write_b128 v16, v[12:15] offset:32
	v_accvgpr_read_b32 v12, a80
	ds_write_b128 v12, v[0:3]
	ds_write_b128 v12, v[36:39] offset:16
	ds_write_b128 v12, v[8:11] offset:32
	v_accvgpr_read_b32 v0, a70
	v_accvgpr_read_b32 v62, a72
	ds_write_b128 v0, v[40:43]
	ds_write_b128 v0, v[44:47] offset:16
	ds_write_b128 v0, v[4:7] offset:32
	v_accvgpr_read_b32 v0, a65
	v_accvgpr_read_b32 v64, a74
	;; [unrolled: 1-line block ×3, first 2 shown]
	ds_write_b128 v0, v[28:31]
	ds_write_b128 v0, v[32:35] offset:16
	ds_write_b128 v0, v[20:23] offset:32
	s_waitcnt lgkmcnt(0)
	s_barrier
	ds_read_b128 v[16:19], v156
	ds_read_b128 v[20:23], v156 offset:10800
	ds_read_b128 v[24:27], v156 offset:21600
	;; [unrolled: 1-line block ×14, first 2 shown]
	v_accvgpr_read_b32 v63, a73
	s_waitcnt lgkmcnt(13)
	v_mul_f64 v[60:61], v[64:65], v[22:23]
	v_fmac_f64_e32 v[60:61], v[62:63], v[20:21]
	v_mul_f64 v[20:21], v[64:65], v[20:21]
	v_fma_f64 v[20:21], v[62:63], v[22:23], -v[20:21]
	v_accvgpr_read_b32 v62, a66
	v_accvgpr_read_b32 v64, a68
	v_accvgpr_read_b32 v65, a69
	v_accvgpr_read_b32 v63, a67
	s_waitcnt lgkmcnt(12)
	v_mul_f64 v[22:23], v[64:65], v[26:27]
	v_fmac_f64_e32 v[22:23], v[62:63], v[24:25]
	v_mul_f64 v[24:25], v[64:65], v[24:25]
	v_fma_f64 v[24:25], v[62:63], v[26:27], -v[24:25]
	v_accvgpr_read_b32 v62, a100
	v_accvgpr_read_b32 v64, a102
	v_accvgpr_read_b32 v65, a103
	;; [unrolled: 9-line block ×3, first 2 shown]
	v_accvgpr_read_b32 v63, a97
	s_waitcnt lgkmcnt(9)
	v_mul_f64 v[30:31], v[64:65], v[34:35]
	v_fmac_f64_e32 v[30:31], v[62:63], v[32:33]
	v_mul_f64 v[32:33], v[64:65], v[32:33]
	v_fma_f64 v[32:33], v[62:63], v[34:35], -v[32:33]
	s_waitcnt lgkmcnt(7)
	v_mul_f64 v[34:35], v[126:127], v[38:39]
	v_fmac_f64_e32 v[34:35], v[124:125], v[36:37]
	v_mul_f64 v[36:37], v[126:127], v[36:37]
	v_fma_f64 v[62:63], v[124:125], v[38:39], -v[36:37]
	s_waitcnt lgkmcnt(6)
	v_mul_f64 v[64:65], v[118:119], v[42:43]
	v_mul_f64 v[36:37], v[118:119], v[40:41]
	v_fmac_f64_e32 v[64:65], v[116:117], v[40:41]
	v_fma_f64 v[66:67], v[116:117], v[42:43], -v[36:37]
	s_waitcnt lgkmcnt(4)
	v_mul_f64 v[116:117], v[86:87], v[46:47]
	v_mul_f64 v[36:37], v[86:87], v[44:45]
	v_fmac_f64_e32 v[116:117], v[84:85], v[44:45]
	;; [unrolled: 5-line block ×5, first 2 shown]
	v_fma_f64 v[56:57], v[76:77], v[58:59], -v[36:37]
	v_add_f64 v[36:37], v[16:17], v[60:61]
	v_add_f64 v[48:49], v[36:37], v[22:23]
	;; [unrolled: 1-line block ×3, first 2 shown]
	v_fmac_f64_e32 v[16:17], -0.5, v[36:37]
	v_add_f64 v[36:37], v[20:21], -v[24:25]
	v_fma_f64 v[44:45], s[4:5], v[36:37], v[16:17]
	v_fmac_f64_e32 v[16:17], s[2:3], v[36:37]
	v_add_f64 v[36:37], v[18:19], v[20:21]
	v_add_f64 v[20:21], v[20:21], v[24:25]
	v_fmac_f64_e32 v[18:19], -0.5, v[20:21]
	v_add_f64 v[20:21], v[60:61], -v[22:23]
	v_fma_f64 v[46:47], s[2:3], v[20:21], v[18:19]
	v_fmac_f64_e32 v[18:19], s[4:5], v[20:21]
	v_add_f64 v[20:21], v[12:13], v[26:27]
	v_add_f64 v[76:77], v[20:21], v[30:31]
	v_add_f64 v[20:21], v[26:27], v[30:31]
	v_fmac_f64_e32 v[12:13], -0.5, v[20:21]
	v_add_f64 v[20:21], v[28:29], -v[32:33]
	v_fma_f64 v[40:41], s[4:5], v[20:21], v[12:13]
	v_fmac_f64_e32 v[12:13], s[2:3], v[20:21]
	v_add_f64 v[20:21], v[14:15], v[28:29]
	;; [unrolled: 7-line block ×3, first 2 shown]
	v_add_f64 v[50:51], v[36:37], v[24:25]
	v_add_f64 v[36:37], v[20:21], v[64:65]
	v_add_f64 v[20:21], v[34:35], v[64:65]
	v_fmac_f64_e32 v[8:9], -0.5, v[20:21]
	v_add_f64 v[20:21], v[62:63], -v[66:67]
	v_fma_f64 v[32:33], s[4:5], v[20:21], v[8:9]
	v_fmac_f64_e32 v[8:9], s[2:3], v[20:21]
	v_add_f64 v[20:21], v[10:11], v[62:63]
	v_add_f64 v[38:39], v[20:21], v[66:67]
	v_add_f64 v[20:21], v[62:63], v[66:67]
	v_fmac_f64_e32 v[10:11], -0.5, v[20:21]
	v_add_f64 v[20:21], v[34:35], -v[64:65]
	v_fma_f64 v[34:35], s[2:3], v[20:21], v[10:11]
	v_fmac_f64_e32 v[10:11], s[4:5], v[20:21]
	;; [unrolled: 7-line block ×3, first 2 shown]
	v_add_f64 v[20:21], v[6:7], v[84:85]
	v_add_f64 v[30:31], v[20:21], v[100:101]
	;; [unrolled: 1-line block ×3, first 2 shown]
	v_fmac_f64_e32 v[6:7], -0.5, v[20:21]
	v_add_f64 v[20:21], v[116:117], -v[86:87]
	v_add_f64 v[22:23], v[102:103], v[54:55]
	v_fma_f64 v[26:27], s[2:3], v[20:21], v[6:7]
	v_fmac_f64_e32 v[6:7], s[4:5], v[20:21]
	v_add_f64 v[20:21], v[0:1], v[102:103]
	v_fmac_f64_e32 v[0:1], -0.5, v[22:23]
	v_add_f64 v[22:23], v[52:53], -v[56:57]
	v_fma_f64 v[64:65], s[4:5], v[22:23], v[0:1]
	v_fmac_f64_e32 v[0:1], s[2:3], v[22:23]
	v_add_f64 v[22:23], v[2:3], v[52:53]
	v_add_f64 v[52:53], v[52:53], v[56:57]
	v_fmac_f64_e32 v[2:3], -0.5, v[52:53]
	v_add_f64 v[52:53], v[102:103], -v[54:55]
	v_fma_f64 v[66:67], s[2:3], v[52:53], v[2:3]
	v_fmac_f64_e32 v[2:3], s[4:5], v[52:53]
	v_accvgpr_read_b32 v52, a123
	s_barrier
	ds_write_b128 v52, v[48:51]
	ds_write_b128 v52, v[44:47] offset:48
	ds_write_b128 v52, v[16:19] offset:96
	v_accvgpr_read_b32 v16, a122
	ds_write_b128 v16, v[76:79]
	ds_write_b128 v16, v[40:43] offset:48
	ds_write_b128 v16, v[12:15] offset:96
	v_accvgpr_read_b32 v12, a121
	;; [unrolled: 4-line block ×3, first 2 shown]
	v_accvgpr_read_b32 v32, a116
	v_add_f64 v[20:21], v[20:21], v[54:55]
	v_add_f64 v[22:23], v[22:23], v[56:57]
	ds_write_b128 v8, v[28:31]
	ds_write_b128 v8, v[24:27] offset:48
	ds_write_b128 v8, v[4:7] offset:96
	v_accvgpr_read_b32 v4, a94
	v_accvgpr_read_b32 v34, a118
	;; [unrolled: 1-line block ×3, first 2 shown]
	ds_write_b128 v4, v[20:23]
	ds_write_b128 v4, v[64:67] offset:48
	ds_write_b128 v4, v[0:3] offset:96
	s_waitcnt lgkmcnt(0)
	s_barrier
	ds_read_b128 v[84:87], v156
	ds_read_b128 v[0:3], v156 offset:6480
	ds_read_b128 v[4:7], v156 offset:12960
	;; [unrolled: 1-line block ×14, first 2 shown]
	v_accvgpr_read_b32 v33, a117
	s_waitcnt lgkmcnt(13)
	v_mul_f64 v[52:53], v[34:35], v[2:3]
	v_fmac_f64_e32 v[52:53], v[32:33], v[0:1]
	v_mul_f64 v[0:1], v[34:35], v[0:1]
	v_fma_f64 v[0:1], v[32:33], v[2:3], -v[0:1]
	v_accvgpr_read_b32 v32, a112
	v_accvgpr_read_b32 v34, a114
	v_accvgpr_read_b32 v35, a115
	v_accvgpr_read_b32 v33, a113
	s_waitcnt lgkmcnt(12)
	v_mul_f64 v[2:3], v[34:35], v[6:7]
	v_fmac_f64_e32 v[2:3], v[32:33], v[4:5]
	v_mul_f64 v[4:5], v[34:35], v[4:5]
	v_fma_f64 v[4:5], v[32:33], v[6:7], -v[4:5]
	v_accvgpr_read_b32 v32, a108
	v_accvgpr_read_b32 v34, a110
	v_accvgpr_read_b32 v35, a111
	v_accvgpr_read_b32 v33, a109
	s_waitcnt lgkmcnt(11)
	v_mul_f64 v[6:7], v[34:35], v[10:11]
	v_fmac_f64_e32 v[6:7], v[32:33], v[8:9]
	v_mul_f64 v[8:9], v[34:35], v[8:9]
	v_fma_f64 v[54:55], v[32:33], v[10:11], -v[8:9]
	v_accvgpr_read_b32 v32, a104
	v_accvgpr_read_b32 v34, a106
	v_accvgpr_read_b32 v35, a107
	v_accvgpr_read_b32 v33, a105
	s_waitcnt lgkmcnt(10)
	v_mul_f64 v[8:9], v[34:35], v[12:13]
	v_fma_f64 v[56:57], v[32:33], v[14:15], -v[8:9]
	s_waitcnt lgkmcnt(8)
	v_mul_f64 v[8:9], v[82:83], v[16:17]
	v_mul_f64 v[10:11], v[34:35], v[14:15]
	v_fma_f64 v[34:35], v[80:81], v[18:19], -v[8:9]
	s_waitcnt lgkmcnt(7)
	v_mul_f64 v[8:9], v[90:91], v[20:21]
	v_fma_f64 v[62:63], v[88:89], v[22:23], -v[8:9]
	s_waitcnt lgkmcnt(6)
	v_mul_f64 v[8:9], v[98:99], v[24:25]
	v_mul_f64 v[58:59], v[82:83], v[18:19]
	v_fma_f64 v[82:83], v[96:97], v[26:27], -v[8:9]
	s_waitcnt lgkmcnt(5)
	v_mul_f64 v[8:9], v[106:107], v[28:29]
	v_fmac_f64_e32 v[58:59], v[80:81], v[16:17]
	v_mul_f64 v[60:61], v[90:91], v[22:23]
	v_mul_f64 v[80:81], v[98:99], v[26:27]
	v_fma_f64 v[98:99], v[104:105], v[30:31], -v[8:9]
	s_waitcnt lgkmcnt(3)
	v_mul_f64 v[8:9], v[194:195], v[36:37]
	v_fmac_f64_e32 v[60:61], v[88:89], v[20:21]
	v_fma_f64 v[20:21], v[192:193], v[38:39], -v[8:9]
	s_waitcnt lgkmcnt(2)
	v_mul_f64 v[8:9], v[186:187], v[40:41]
	v_fma_f64 v[22:23], v[184:185], v[42:43], -v[8:9]
	s_waitcnt lgkmcnt(1)
	v_mul_f64 v[8:9], v[182:183], v[44:45]
	;; [unrolled: 3-line block ×3, first 2 shown]
	v_fmac_f64_e32 v[80:81], v[96:97], v[24:25]
	v_mul_f64 v[96:97], v[106:107], v[30:31]
	v_fma_f64 v[30:31], v[172:173], v[50:51], -v[8:9]
	v_add_f64 v[8:9], v[84:85], v[52:53]
	v_add_f64 v[8:9], v[8:9], v[2:3]
	v_fmac_f64_e32 v[10:11], v[32:33], v[12:13]
	v_add_f64 v[8:9], v[8:9], v[6:7]
	v_add_f64 v[16:17], v[8:9], v[10:11]
	;; [unrolled: 1-line block ×3, first 2 shown]
	v_fma_f64 v[116:117], -0.5, v[8:9], v[84:85]
	v_add_f64 v[14:15], v[0:1], -v[56:57]
	v_mul_f64 v[24:25], v[194:195], v[38:39]
	v_fma_f64 v[12:13], s[16:17], v[14:15], v[116:117]
	v_add_f64 v[18:19], v[4:5], -v[54:55]
	v_add_f64 v[8:9], v[52:53], -v[2:3]
	;; [unrolled: 1-line block ×3, first 2 shown]
	v_fmac_f64_e32 v[116:117], s[8:9], v[14:15]
	v_fmac_f64_e32 v[12:13], s[14:15], v[18:19]
	v_add_f64 v[8:9], v[8:9], v[38:39]
	v_fmac_f64_e32 v[116:117], s[10:11], v[18:19]
	v_fmac_f64_e32 v[12:13], s[12:13], v[8:9]
	;; [unrolled: 1-line block ×3, first 2 shown]
	v_add_f64 v[8:9], v[52:53], v[10:11]
	v_fmac_f64_e32 v[84:85], -0.5, v[8:9]
	v_fma_f64 v[8:9], s[8:9], v[18:19], v[84:85]
	v_fmac_f64_e32 v[84:85], s[16:17], v[18:19]
	v_fmac_f64_e32 v[8:9], s[14:15], v[14:15]
	;; [unrolled: 1-line block ×3, first 2 shown]
	v_add_f64 v[14:15], v[86:87], v[0:1]
	v_fmac_f64_e32 v[96:97], v[104:105], v[28:29]
	v_mul_f64 v[28:29], v[186:187], v[42:43]
	v_add_f64 v[14:15], v[14:15], v[4:5]
	v_fmac_f64_e32 v[28:29], v[184:185], v[40:41]
	v_add_f64 v[38:39], v[2:3], -v[52:53]
	v_add_f64 v[40:41], v[6:7], -v[10:11]
	v_add_f64 v[14:15], v[14:15], v[54:55]
	v_add_f64 v[38:39], v[38:39], v[40:41]
	;; [unrolled: 1-line block ×4, first 2 shown]
	v_fmac_f64_e32 v[8:9], s[12:13], v[38:39]
	v_fmac_f64_e32 v[84:85], s[12:13], v[38:39]
	v_fma_f64 v[118:119], -0.5, v[14:15], v[86:87]
	v_add_f64 v[38:39], v[52:53], -v[10:11]
	v_fma_f64 v[14:15], s[8:9], v[38:39], v[118:119]
	v_add_f64 v[2:3], v[2:3], -v[6:7]
	v_add_f64 v[6:7], v[0:1], -v[4:5]
	;; [unrolled: 1-line block ×3, first 2 shown]
	v_fmac_f64_e32 v[118:119], s[16:17], v[38:39]
	v_fmac_f64_e32 v[14:15], s[10:11], v[2:3]
	v_add_f64 v[6:7], v[6:7], v[10:11]
	v_fmac_f64_e32 v[118:119], s[14:15], v[2:3]
	v_fmac_f64_e32 v[14:15], s[12:13], v[6:7]
	;; [unrolled: 1-line block ×3, first 2 shown]
	v_add_f64 v[6:7], v[0:1], v[56:57]
	v_fmac_f64_e32 v[86:87], -0.5, v[6:7]
	v_fma_f64 v[10:11], s[16:17], v[2:3], v[86:87]
	v_add_f64 v[0:1], v[4:5], -v[0:1]
	v_add_f64 v[4:5], v[54:55], -v[56:57]
	v_fmac_f64_e32 v[86:87], s[8:9], v[2:3]
	v_fmac_f64_e32 v[10:11], s[10:11], v[38:39]
	v_add_f64 v[0:1], v[0:1], v[4:5]
	v_fmac_f64_e32 v[86:87], s[14:15], v[38:39]
	v_fmac_f64_e32 v[10:11], s[12:13], v[0:1]
	;; [unrolled: 1-line block ×3, first 2 shown]
	v_add_f64 v[0:1], v[76:77], v[58:59]
	v_add_f64 v[0:1], v[0:1], v[60:61]
	;; [unrolled: 1-line block ×5, first 2 shown]
	v_fma_f64 v[88:89], -0.5, v[0:1], v[76:77]
	v_add_f64 v[2:3], v[34:35], -v[98:99]
	v_fma_f64 v[0:1], s[16:17], v[2:3], v[88:89]
	v_add_f64 v[6:7], v[62:63], -v[82:83]
	v_add_f64 v[38:39], v[58:59], -v[60:61]
	;; [unrolled: 1-line block ×3, first 2 shown]
	v_fmac_f64_e32 v[88:89], s[8:9], v[2:3]
	v_fmac_f64_e32 v[0:1], s[14:15], v[6:7]
	v_add_f64 v[38:39], v[38:39], v[40:41]
	v_fmac_f64_e32 v[88:89], s[10:11], v[6:7]
	v_fmac_f64_e32 v[0:1], s[12:13], v[38:39]
	;; [unrolled: 1-line block ×3, first 2 shown]
	v_add_f64 v[38:39], v[58:59], v[96:97]
	v_fmac_f64_e32 v[76:77], -0.5, v[38:39]
	v_fma_f64 v[104:105], s[8:9], v[6:7], v[76:77]
	v_fmac_f64_e32 v[76:77], s[16:17], v[6:7]
	v_fmac_f64_e32 v[104:105], s[14:15], v[2:3]
	;; [unrolled: 1-line block ×3, first 2 shown]
	v_add_f64 v[2:3], v[78:79], v[34:35]
	v_add_f64 v[2:3], v[2:3], v[62:63]
	v_add_f64 v[38:39], v[60:61], -v[58:59]
	v_add_f64 v[40:41], v[80:81], -v[96:97]
	v_add_f64 v[2:3], v[2:3], v[82:83]
	v_add_f64 v[38:39], v[38:39], v[40:41]
	;; [unrolled: 1-line block ×4, first 2 shown]
	v_mul_f64 v[32:33], v[182:183], v[46:47]
	v_fmac_f64_e32 v[104:105], s[12:13], v[38:39]
	v_fmac_f64_e32 v[76:77], s[12:13], v[38:39]
	v_fma_f64 v[90:91], -0.5, v[2:3], v[78:79]
	v_add_f64 v[38:39], v[58:59], -v[96:97]
	v_fmac_f64_e32 v[32:33], v[180:181], v[44:45]
	v_fma_f64 v[2:3], s[8:9], v[38:39], v[90:91]
	v_add_f64 v[40:41], v[60:61], -v[80:81]
	v_add_f64 v[42:43], v[34:35], -v[62:63]
	;; [unrolled: 1-line block ×3, first 2 shown]
	v_fmac_f64_e32 v[90:91], s[16:17], v[38:39]
	v_fmac_f64_e32 v[2:3], s[10:11], v[40:41]
	v_add_f64 v[42:43], v[42:43], v[44:45]
	v_fmac_f64_e32 v[90:91], s[14:15], v[40:41]
	v_fmac_f64_e32 v[2:3], s[12:13], v[42:43]
	;; [unrolled: 1-line block ×3, first 2 shown]
	v_add_f64 v[42:43], v[34:35], v[98:99]
	v_fmac_f64_e32 v[78:79], -0.5, v[42:43]
	v_fma_f64 v[106:107], s[16:17], v[40:41], v[78:79]
	v_add_f64 v[34:35], v[62:63], -v[34:35]
	v_add_f64 v[42:43], v[82:83], -v[98:99]
	v_fmac_f64_e32 v[78:79], s[8:9], v[40:41]
	v_fmac_f64_e32 v[24:25], v[192:193], v[36:37]
	;; [unrolled: 1-line block ×3, first 2 shown]
	v_add_f64 v[34:35], v[34:35], v[42:43]
	v_fmac_f64_e32 v[78:79], s[14:15], v[38:39]
	v_fmac_f64_e32 v[106:107], s[12:13], v[34:35]
	;; [unrolled: 1-line block ×3, first 2 shown]
	v_add_f64 v[34:35], v[64:65], v[24:25]
	v_mul_f64 v[36:37], v[174:175], v[50:51]
	v_add_f64 v[34:35], v[34:35], v[28:29]
	v_fmac_f64_e32 v[36:37], v[172:173], v[48:49]
	v_add_f64 v[34:35], v[34:35], v[32:33]
	v_add_f64 v[124:125], v[34:35], v[36:37]
	v_add_f64 v[34:35], v[28:29], v[32:33]
	v_fma_f64 v[80:81], -0.5, v[34:35], v[64:65]
	v_add_f64 v[34:35], v[20:21], -v[30:31]
	v_fma_f64 v[100:101], s[16:17], v[34:35], v[80:81]
	v_add_f64 v[38:39], v[22:23], -v[26:27]
	v_add_f64 v[40:41], v[24:25], -v[28:29]
	;; [unrolled: 1-line block ×3, first 2 shown]
	v_fmac_f64_e32 v[80:81], s[8:9], v[34:35]
	v_fmac_f64_e32 v[100:101], s[14:15], v[38:39]
	v_add_f64 v[40:41], v[40:41], v[42:43]
	v_fmac_f64_e32 v[80:81], s[10:11], v[38:39]
	v_fmac_f64_e32 v[100:101], s[12:13], v[40:41]
	v_fmac_f64_e32 v[80:81], s[12:13], v[40:41]
	v_add_f64 v[40:41], v[24:25], v[36:37]
	v_fmac_f64_e32 v[64:65], -0.5, v[40:41]
	v_fma_f64 v[96:97], s[8:9], v[38:39], v[64:65]
	v_fmac_f64_e32 v[64:65], s[16:17], v[38:39]
	v_fmac_f64_e32 v[96:97], s[14:15], v[34:35]
	;; [unrolled: 1-line block ×3, first 2 shown]
	v_add_f64 v[34:35], v[66:67], v[20:21]
	v_add_f64 v[34:35], v[34:35], v[22:23]
	;; [unrolled: 1-line block ×5, first 2 shown]
	v_add_f64 v[40:41], v[28:29], -v[24:25]
	v_fma_f64 v[82:83], -0.5, v[34:35], v[66:67]
	v_add_f64 v[24:25], v[24:25], -v[36:37]
	v_add_f64 v[42:43], v[32:33], -v[36:37]
	v_fma_f64 v[102:103], s[8:9], v[24:25], v[82:83]
	v_add_f64 v[28:29], v[28:29], -v[32:33]
	v_add_f64 v[32:33], v[20:21], -v[22:23]
	;; [unrolled: 1-line block ×3, first 2 shown]
	v_fmac_f64_e32 v[82:83], s[16:17], v[24:25]
	v_fmac_f64_e32 v[102:103], s[10:11], v[28:29]
	v_add_f64 v[32:33], v[32:33], v[34:35]
	v_fmac_f64_e32 v[82:83], s[14:15], v[28:29]
	v_fmac_f64_e32 v[102:103], s[12:13], v[32:33]
	;; [unrolled: 1-line block ×3, first 2 shown]
	v_add_f64 v[32:33], v[20:21], v[30:31]
	v_fmac_f64_e32 v[66:67], -0.5, v[32:33]
	v_fma_f64 v[98:99], s[16:17], v[28:29], v[66:67]
	v_add_f64 v[20:21], v[22:23], -v[20:21]
	v_add_f64 v[22:23], v[26:27], -v[30:31]
	v_fmac_f64_e32 v[66:67], s[8:9], v[28:29]
	v_fmac_f64_e32 v[98:99], s[10:11], v[24:25]
	v_add_f64 v[20:21], v[20:21], v[22:23]
	v_fmac_f64_e32 v[66:67], s[14:15], v[24:25]
	v_add_f64 v[40:41], v[40:41], v[42:43]
	v_fmac_f64_e32 v[98:99], s[12:13], v[20:21]
	v_fmac_f64_e32 v[66:67], s[12:13], v[20:21]
	v_accvgpr_read_b32 v20, a120
	v_fmac_f64_e32 v[64:65], s[12:13], v[40:41]
	s_barrier
	ds_write_b128 v20, v[16:19]
	ds_write_b128 v20, v[12:15] offset:144
	ds_write_b128 v20, v[8:11] offset:288
	;; [unrolled: 1-line block ×4, first 2 shown]
	v_accvgpr_read_b32 v8, a64
	v_fmac_f64_e32 v[96:97], s[12:13], v[40:41]
	ds_write_b128 v8, v[4:7]
	ds_write_b128 v8, v[0:3] offset:144
	ds_write_b128 v8, v[104:107] offset:288
	;; [unrolled: 1-line block ×4, first 2 shown]
	ds_write_b128 v159, v[124:127]
	ds_write_b128 v159, v[100:103] offset:144
	ds_write_b128 v159, v[96:99] offset:288
	;; [unrolled: 1-line block ×4, first 2 shown]
	v_accvgpr_read_b32 v64, a90
	v_accvgpr_read_b32 v66, a92
	;; [unrolled: 1-line block ×3, first 2 shown]
	s_waitcnt lgkmcnt(0)
	s_barrier
	ds_read_b128 v[8:11], v156
	ds_read_b128 v[12:15], v156 offset:6480
	ds_read_b128 v[16:19], v156 offset:12960
	;; [unrolled: 1-line block ×14, first 2 shown]
	v_accvgpr_read_b32 v65, a91
	s_waitcnt lgkmcnt(13)
	v_mul_f64 v[62:63], v[66:67], v[14:15]
	v_fmac_f64_e32 v[62:63], v[64:65], v[12:13]
	v_mul_f64 v[12:13], v[66:67], v[12:13]
	v_fma_f64 v[12:13], v[64:65], v[14:15], -v[12:13]
	v_accvgpr_read_b32 v64, a86
	v_accvgpr_read_b32 v66, a88
	;; [unrolled: 1-line block ×4, first 2 shown]
	s_waitcnt lgkmcnt(12)
	v_mul_f64 v[14:15], v[66:67], v[18:19]
	v_fmac_f64_e32 v[14:15], v[64:65], v[16:17]
	v_mul_f64 v[16:17], v[66:67], v[16:17]
	v_fma_f64 v[76:77], v[64:65], v[18:19], -v[16:17]
	v_accvgpr_read_b32 v64, a82
	v_accvgpr_read_b32 v66, a84
	;; [unrolled: 1-line block ×4, first 2 shown]
	s_waitcnt lgkmcnt(11)
	v_mul_f64 v[78:79], v[66:67], v[22:23]
	v_mul_f64 v[16:17], v[66:67], v[20:21]
	v_fmac_f64_e32 v[78:79], v[64:65], v[20:21]
	v_fma_f64 v[20:21], v[64:65], v[22:23], -v[16:17]
	v_accvgpr_read_b32 v64, a76
	v_accvgpr_read_b32 v66, a78
	;; [unrolled: 1-line block ×4, first 2 shown]
	s_waitcnt lgkmcnt(10)
	v_mul_f64 v[22:23], v[66:67], v[26:27]
	v_mul_f64 v[16:17], v[66:67], v[24:25]
	v_fmac_f64_e32 v[22:23], v[64:65], v[24:25]
	v_fma_f64 v[24:25], v[64:65], v[26:27], -v[16:17]
	s_waitcnt lgkmcnt(8)
	v_mul_f64 v[26:27], v[70:71], v[30:31]
	v_mul_f64 v[16:17], v[70:71], v[28:29]
	v_accvgpr_read_b32 v64, a124
	v_fmac_f64_e32 v[26:27], v[68:69], v[28:29]
	v_fma_f64 v[28:29], v[68:69], v[30:31], -v[16:17]
	s_waitcnt lgkmcnt(7)
	v_mul_f64 v[30:31], v[74:75], v[34:35]
	v_mul_f64 v[16:17], v[74:75], v[32:33]
	v_accvgpr_read_b32 v66, a126
	v_accvgpr_read_b32 v67, a127
	v_fmac_f64_e32 v[30:31], v[72:73], v[32:33]
	v_fma_f64 v[32:33], v[72:73], v[34:35], -v[16:17]
	v_accvgpr_read_b32 v65, a125
	s_waitcnt lgkmcnt(6)
	v_mul_f64 v[34:35], v[66:67], v[38:39]
	v_mul_f64 v[16:17], v[66:67], v[36:37]
	v_fmac_f64_e32 v[34:35], v[64:65], v[36:37]
	v_fma_f64 v[80:81], v[64:65], v[38:39], -v[16:17]
	v_accvgpr_read_b32 v36, a128
	v_accvgpr_read_b32 v38, a130
	;; [unrolled: 1-line block ×4, first 2 shown]
	s_waitcnt lgkmcnt(5)
	v_mul_f64 v[70:71], v[38:39], v[42:43]
	v_mul_f64 v[16:17], v[38:39], v[40:41]
	v_fmac_f64_e32 v[70:71], v[36:37], v[40:41]
	v_fma_f64 v[40:41], v[36:37], v[42:43], -v[16:17]
	s_waitcnt lgkmcnt(3)
	v_mul_f64 v[42:43], v[190:191], v[46:47]
	v_mul_f64 v[16:17], v[190:191], v[44:45]
	v_fmac_f64_e32 v[42:43], v[188:189], v[44:45]
	v_fma_f64 v[44:45], v[188:189], v[46:47], -v[16:17]
	;; [unrolled: 5-line block ×5, first 2 shown]
	v_add_f64 v[16:17], v[8:9], v[62:63]
	v_add_f64 v[16:17], v[16:17], v[14:15]
	;; [unrolled: 1-line block ×5, first 2 shown]
	v_fma_f64 v[16:17], -0.5, v[16:17], v[8:9]
	v_add_f64 v[18:19], v[12:13], -v[24:25]
	v_fma_f64 v[64:65], s[16:17], v[18:19], v[16:17]
	v_add_f64 v[36:37], v[76:77], -v[20:21]
	v_add_f64 v[38:39], v[62:63], -v[14:15]
	;; [unrolled: 1-line block ×3, first 2 shown]
	v_fmac_f64_e32 v[16:17], s[8:9], v[18:19]
	v_fmac_f64_e32 v[64:65], s[14:15], v[36:37]
	v_add_f64 v[38:39], v[38:39], v[58:59]
	v_fmac_f64_e32 v[16:17], s[10:11], v[36:37]
	v_fmac_f64_e32 v[64:65], s[12:13], v[38:39]
	;; [unrolled: 1-line block ×3, first 2 shown]
	v_add_f64 v[38:39], v[62:63], v[22:23]
	v_fmac_f64_e32 v[8:9], -0.5, v[38:39]
	v_fma_f64 v[60:61], s[8:9], v[36:37], v[8:9]
	v_fmac_f64_e32 v[8:9], s[16:17], v[36:37]
	v_fmac_f64_e32 v[60:61], s[14:15], v[18:19]
	;; [unrolled: 1-line block ×3, first 2 shown]
	v_add_f64 v[18:19], v[10:11], v[12:13]
	v_add_f64 v[18:19], v[18:19], v[76:77]
	v_add_f64 v[18:19], v[18:19], v[20:21]
	v_add_f64 v[38:39], v[14:15], -v[62:63]
	v_add_f64 v[58:59], v[78:79], -v[22:23]
	v_add_f64 v[74:75], v[18:19], v[24:25]
	v_add_f64 v[18:19], v[76:77], v[20:21]
	v_add_f64 v[38:39], v[38:39], v[58:59]
	v_fma_f64 v[18:19], -0.5, v[18:19], v[10:11]
	v_add_f64 v[22:23], v[62:63], -v[22:23]
	v_fmac_f64_e32 v[60:61], s[12:13], v[38:39]
	v_fmac_f64_e32 v[8:9], s[12:13], v[38:39]
	v_fma_f64 v[66:67], s[8:9], v[22:23], v[18:19]
	v_add_f64 v[14:15], v[14:15], -v[78:79]
	v_add_f64 v[36:37], v[12:13], -v[76:77]
	;; [unrolled: 1-line block ×3, first 2 shown]
	v_fmac_f64_e32 v[18:19], s[16:17], v[22:23]
	v_fmac_f64_e32 v[66:67], s[10:11], v[14:15]
	v_add_f64 v[36:37], v[36:37], v[38:39]
	v_fmac_f64_e32 v[18:19], s[14:15], v[14:15]
	v_fmac_f64_e32 v[66:67], s[12:13], v[36:37]
	;; [unrolled: 1-line block ×3, first 2 shown]
	v_add_f64 v[36:37], v[12:13], v[24:25]
	v_fmac_f64_e32 v[10:11], -0.5, v[36:37]
	v_fma_f64 v[62:63], s[16:17], v[14:15], v[10:11]
	v_add_f64 v[12:13], v[76:77], -v[12:13]
	v_add_f64 v[20:21], v[20:21], -v[24:25]
	v_fmac_f64_e32 v[10:11], s[8:9], v[14:15]
	v_fmac_f64_e32 v[62:63], s[10:11], v[22:23]
	v_add_f64 v[12:13], v[12:13], v[20:21]
	v_fmac_f64_e32 v[10:11], s[14:15], v[22:23]
	v_fmac_f64_e32 v[62:63], s[12:13], v[12:13]
	;; [unrolled: 1-line block ×3, first 2 shown]
	v_add_f64 v[12:13], v[4:5], v[26:27]
	v_add_f64 v[12:13], v[12:13], v[30:31]
	;; [unrolled: 1-line block ×5, first 2 shown]
	v_fma_f64 v[20:21], -0.5, v[12:13], v[4:5]
	v_add_f64 v[12:13], v[28:29], -v[40:41]
	v_fma_f64 v[76:77], s[16:17], v[12:13], v[20:21]
	v_add_f64 v[14:15], v[32:33], -v[80:81]
	v_add_f64 v[22:23], v[26:27], -v[30:31]
	;; [unrolled: 1-line block ×3, first 2 shown]
	v_fmac_f64_e32 v[20:21], s[8:9], v[12:13]
	v_fmac_f64_e32 v[76:77], s[14:15], v[14:15]
	v_add_f64 v[22:23], v[22:23], v[24:25]
	v_fmac_f64_e32 v[20:21], s[10:11], v[14:15]
	v_fmac_f64_e32 v[76:77], s[12:13], v[22:23]
	;; [unrolled: 1-line block ×3, first 2 shown]
	v_add_f64 v[22:23], v[26:27], v[70:71]
	v_fmac_f64_e32 v[4:5], -0.5, v[22:23]
	v_fma_f64 v[68:69], s[8:9], v[14:15], v[4:5]
	v_fmac_f64_e32 v[4:5], s[16:17], v[14:15]
	v_fmac_f64_e32 v[68:69], s[14:15], v[12:13]
	;; [unrolled: 1-line block ×3, first 2 shown]
	v_add_f64 v[12:13], v[6:7], v[28:29]
	v_add_f64 v[12:13], v[12:13], v[32:33]
	v_add_f64 v[22:23], v[30:31], -v[26:27]
	v_add_f64 v[24:25], v[34:35], -v[70:71]
	v_add_f64 v[12:13], v[12:13], v[80:81]
	v_add_f64 v[22:23], v[22:23], v[24:25]
	;; [unrolled: 1-line block ×4, first 2 shown]
	v_fmac_f64_e32 v[68:69], s[12:13], v[22:23]
	v_fmac_f64_e32 v[4:5], s[12:13], v[22:23]
	v_fma_f64 v[22:23], -0.5, v[12:13], v[6:7]
	v_add_f64 v[12:13], v[26:27], -v[70:71]
	v_fma_f64 v[78:79], s[8:9], v[12:13], v[22:23]
	v_add_f64 v[14:15], v[30:31], -v[34:35]
	v_add_f64 v[24:25], v[28:29], -v[32:33]
	;; [unrolled: 1-line block ×3, first 2 shown]
	v_fmac_f64_e32 v[22:23], s[16:17], v[12:13]
	v_fmac_f64_e32 v[78:79], s[10:11], v[14:15]
	v_add_f64 v[24:25], v[24:25], v[26:27]
	v_fmac_f64_e32 v[22:23], s[14:15], v[14:15]
	v_fmac_f64_e32 v[78:79], s[12:13], v[24:25]
	;; [unrolled: 1-line block ×3, first 2 shown]
	v_add_f64 v[24:25], v[28:29], v[40:41]
	v_fmac_f64_e32 v[6:7], -0.5, v[24:25]
	v_fma_f64 v[70:71], s[16:17], v[14:15], v[6:7]
	v_fmac_f64_e32 v[6:7], s[8:9], v[14:15]
	v_fmac_f64_e32 v[70:71], s[10:11], v[12:13]
	;; [unrolled: 1-line block ×3, first 2 shown]
	v_add_f64 v[12:13], v[0:1], v[42:43]
	v_add_f64 v[12:13], v[12:13], v[46:47]
	;; [unrolled: 1-line block ×3, first 2 shown]
	v_add_f64 v[24:25], v[32:33], -v[28:29]
	v_add_f64 v[26:27], v[80:81], -v[40:41]
	v_add_f64 v[32:33], v[12:13], v[54:55]
	v_add_f64 v[12:13], v[46:47], v[50:51]
	;; [unrolled: 1-line block ×3, first 2 shown]
	v_fma_f64 v[12:13], -0.5, v[12:13], v[0:1]
	v_add_f64 v[14:15], v[44:45], -v[56:57]
	v_fmac_f64_e32 v[70:71], s[12:13], v[24:25]
	v_fmac_f64_e32 v[6:7], s[12:13], v[24:25]
	v_fma_f64 v[28:29], s[16:17], v[14:15], v[12:13]
	v_add_f64 v[26:27], v[48:49], -v[52:53]
	v_add_f64 v[24:25], v[42:43], -v[46:47]
	;; [unrolled: 1-line block ×3, first 2 shown]
	v_fmac_f64_e32 v[12:13], s[8:9], v[14:15]
	v_fmac_f64_e32 v[28:29], s[14:15], v[26:27]
	v_add_f64 v[24:25], v[24:25], v[30:31]
	v_fmac_f64_e32 v[12:13], s[10:11], v[26:27]
	v_fmac_f64_e32 v[28:29], s[12:13], v[24:25]
	;; [unrolled: 1-line block ×3, first 2 shown]
	v_add_f64 v[24:25], v[42:43], v[54:55]
	v_fmac_f64_e32 v[0:1], -0.5, v[24:25]
	v_fma_f64 v[24:25], s[8:9], v[26:27], v[0:1]
	v_fmac_f64_e32 v[0:1], s[16:17], v[26:27]
	v_fmac_f64_e32 v[24:25], s[14:15], v[14:15]
	;; [unrolled: 1-line block ×3, first 2 shown]
	v_add_f64 v[14:15], v[2:3], v[44:45]
	v_add_f64 v[14:15], v[14:15], v[48:49]
	v_add_f64 v[30:31], v[46:47], -v[42:43]
	v_add_f64 v[34:35], v[50:51], -v[54:55]
	v_add_f64 v[14:15], v[14:15], v[52:53]
	v_add_f64 v[30:31], v[30:31], v[34:35]
	v_add_f64 v[34:35], v[14:15], v[56:57]
	v_add_f64 v[14:15], v[48:49], v[52:53]
	v_fma_f64 v[14:15], -0.5, v[14:15], v[2:3]
	v_add_f64 v[40:41], v[42:43], -v[54:55]
	v_fmac_f64_e32 v[24:25], s[12:13], v[30:31]
	v_fmac_f64_e32 v[0:1], s[12:13], v[30:31]
	v_fma_f64 v[30:31], s[8:9], v[40:41], v[14:15]
	v_add_f64 v[42:43], v[46:47], -v[50:51]
	v_add_f64 v[26:27], v[44:45], -v[48:49]
	;; [unrolled: 1-line block ×3, first 2 shown]
	v_fmac_f64_e32 v[14:15], s[16:17], v[40:41]
	v_fmac_f64_e32 v[30:31], s[10:11], v[42:43]
	v_add_f64 v[26:27], v[26:27], v[46:47]
	v_fmac_f64_e32 v[14:15], s[14:15], v[42:43]
	v_fmac_f64_e32 v[30:31], s[12:13], v[26:27]
	;; [unrolled: 1-line block ×3, first 2 shown]
	v_add_f64 v[26:27], v[44:45], v[56:57]
	v_fmac_f64_e32 v[2:3], -0.5, v[26:27]
	v_fma_f64 v[26:27], s[16:17], v[42:43], v[2:3]
	v_add_f64 v[44:45], v[48:49], -v[44:45]
	v_add_f64 v[46:47], v[52:53], -v[56:57]
	v_fmac_f64_e32 v[2:3], s[8:9], v[42:43]
	v_fmac_f64_e32 v[26:27], s[10:11], v[40:41]
	v_add_f64 v[44:45], v[44:45], v[46:47]
	v_fmac_f64_e32 v[2:3], s[14:15], v[40:41]
	v_fmac_f64_e32 v[26:27], s[12:13], v[44:45]
	;; [unrolled: 1-line block ×3, first 2 shown]
	s_barrier
	ds_write_b128 v139, v[72:75]
	ds_write_b128 v139, v[64:67] offset:720
	ds_write_b128 v139, v[60:63] offset:1440
	ds_write_b128 v139, v[8:11] offset:2160
	ds_write_b128 v139, v[16:19] offset:2880
	ds_write_b128 v115, v[36:39]
	ds_write_b128 v115, v[76:79] offset:720
	ds_write_b128 v115, v[68:71] offset:1440
	ds_write_b128 v115, v[4:7] offset:2160
	ds_write_b128 v115, v[20:23] offset:2880
	ds_write_b128 v114, v[32:35]
	ds_write_b128 v114, v[28:31] offset:720
	ds_write_b128 v114, v[24:27] offset:1440
	ds_write_b128 v114, v[0:3] offset:2160
	ds_write_b128 v114, v[12:15] offset:2880
	s_waitcnt lgkmcnt(0)
	s_barrier
	ds_read_b128 v[12:15], v156
	ds_read_b128 v[20:23], v156 offset:10800
	ds_read_b128 v[24:27], v156 offset:21600
	;; [unrolled: 1-line block ×14, first 2 shown]
	s_waitcnt lgkmcnt(13)
	v_mul_f64 v[60:61], v[202:203], v[22:23]
	v_fmac_f64_e32 v[60:61], v[200:201], v[20:21]
	v_mul_f64 v[20:21], v[202:203], v[20:21]
	v_fma_f64 v[20:21], v[200:201], v[22:23], -v[20:21]
	s_waitcnt lgkmcnt(12)
	v_mul_f64 v[22:23], v[198:199], v[26:27]
	v_fmac_f64_e32 v[22:23], v[196:197], v[24:25]
	v_mul_f64 v[24:25], v[198:199], v[24:25]
	v_fma_f64 v[24:25], v[196:197], v[26:27], -v[24:25]
	;; [unrolled: 5-line block ×5, first 2 shown]
	s_waitcnt lgkmcnt(6)
	v_mul_f64 v[36:37], v[214:215], v[40:41]
	v_fma_f64 v[66:67], v[212:213], v[42:43], -v[36:37]
	s_waitcnt lgkmcnt(4)
	v_mul_f64 v[36:37], v[226:227], v[44:45]
	v_fma_f64 v[70:71], v[224:225], v[46:47], -v[36:37]
	;; [unrolled: 3-line block ×4, first 2 shown]
	s_waitcnt lgkmcnt(0)
	v_mul_f64 v[36:37], v[230:231], v[56:57]
	v_add_f64 v[38:39], v[60:61], v[22:23]
	v_mul_f64 v[64:65], v[214:215], v[42:43]
	v_fma_f64 v[82:83], v[228:229], v[58:59], -v[36:37]
	v_add_f64 v[36:37], v[12:13], v[60:61]
	v_fmac_f64_e32 v[12:13], -0.5, v[38:39]
	v_add_f64 v[38:39], v[20:21], -v[24:25]
	v_fmac_f64_e32 v[64:65], v[212:213], v[40:41]
	v_fma_f64 v[40:41], s[4:5], v[38:39], v[12:13]
	v_fmac_f64_e32 v[12:13], s[2:3], v[38:39]
	v_add_f64 v[38:39], v[14:15], v[20:21]
	v_add_f64 v[20:21], v[20:21], v[24:25]
	v_fmac_f64_e32 v[14:15], -0.5, v[20:21]
	v_add_f64 v[20:21], v[60:61], -v[22:23]
	v_mul_f64 v[68:69], v[226:227], v[46:47]
	v_fma_f64 v[42:43], s[2:3], v[20:21], v[14:15]
	v_fmac_f64_e32 v[14:15], s[4:5], v[20:21]
	v_add_f64 v[20:21], v[8:9], v[26:27]
	v_fmac_f64_e32 v[68:69], v[224:225], v[44:45]
	v_add_f64 v[44:45], v[20:21], v[30:31]
	v_add_f64 v[20:21], v[26:27], v[30:31]
	v_mul_f64 v[72:73], v[222:223], v[50:51]
	v_fmac_f64_e32 v[8:9], -0.5, v[20:21]
	v_add_f64 v[20:21], v[28:29], -v[32:33]
	v_fmac_f64_e32 v[72:73], v[220:221], v[48:49]
	v_fma_f64 v[48:49], s[4:5], v[20:21], v[8:9]
	v_fmac_f64_e32 v[8:9], s[2:3], v[20:21]
	v_add_f64 v[20:21], v[10:11], v[28:29]
	v_add_f64 v[46:47], v[20:21], v[32:33]
	;; [unrolled: 1-line block ×3, first 2 shown]
	v_fmac_f64_e32 v[10:11], -0.5, v[20:21]
	v_add_f64 v[20:21], v[26:27], -v[30:31]
	v_mul_f64 v[76:77], v[234:235], v[54:55]
	v_fma_f64 v[50:51], s[2:3], v[20:21], v[10:11]
	v_fmac_f64_e32 v[10:11], s[4:5], v[20:21]
	v_add_f64 v[20:21], v[4:5], v[34:35]
	v_fmac_f64_e32 v[76:77], v[232:233], v[52:53]
	v_add_f64 v[52:53], v[20:21], v[64:65]
	v_add_f64 v[20:21], v[34:35], v[64:65]
	v_mul_f64 v[80:81], v[230:231], v[58:59]
	v_fmac_f64_e32 v[4:5], -0.5, v[20:21]
	v_add_f64 v[20:21], v[62:63], -v[66:67]
	v_fmac_f64_e32 v[80:81], v[228:229], v[56:57]
	v_fma_f64 v[56:57], s[4:5], v[20:21], v[4:5]
	v_fmac_f64_e32 v[4:5], s[2:3], v[20:21]
	v_add_f64 v[20:21], v[6:7], v[62:63]
	v_add_f64 v[54:55], v[20:21], v[66:67]
	v_add_f64 v[20:21], v[62:63], v[66:67]
	v_fmac_f64_e32 v[6:7], -0.5, v[20:21]
	v_add_f64 v[20:21], v[34:35], -v[64:65]
	v_fma_f64 v[58:59], s[2:3], v[20:21], v[6:7]
	v_fmac_f64_e32 v[6:7], s[4:5], v[20:21]
	v_add_f64 v[20:21], v[0:1], v[68:69]
	v_add_f64 v[32:33], v[20:21], v[72:73]
	v_add_f64 v[20:21], v[68:69], v[72:73]
	v_fmac_f64_e32 v[0:1], -0.5, v[20:21]
	v_add_f64 v[20:21], v[70:71], -v[74:75]
	;; [unrolled: 7-line block ×3, first 2 shown]
	v_fma_f64 v[30:31], s[2:3], v[20:21], v[2:3]
	v_fmac_f64_e32 v[2:3], s[4:5], v[20:21]
	v_add_f64 v[20:21], v[16:17], v[76:77]
	v_add_f64 v[38:39], v[38:39], v[24:25]
	;; [unrolled: 1-line block ×5, first 2 shown]
	v_fmac_f64_e32 v[16:17], -0.5, v[20:21]
	v_add_f64 v[22:23], v[78:79], -v[82:83]
	v_fma_f64 v[20:21], s[4:5], v[22:23], v[16:17]
	v_fmac_f64_e32 v[16:17], s[2:3], v[22:23]
	v_add_f64 v[22:23], v[18:19], v[78:79]
	v_add_f64 v[26:27], v[22:23], v[82:83]
	;; [unrolled: 1-line block ×3, first 2 shown]
	v_fmac_f64_e32 v[18:19], -0.5, v[22:23]
	v_add_f64 v[60:61], v[76:77], -v[80:81]
	s_barrier
	ds_write_b128 v156, v[36:39]
	ds_write_b128 v156, v[40:43] offset:3600
	ds_write_b128 v156, v[12:15] offset:7200
	v_accvgpr_read_b32 v12, a132
	v_fma_f64 v[22:23], s[2:3], v[60:61], v[18:19]
	v_fmac_f64_e32 v[18:19], s[4:5], v[60:61]
	ds_write_b128 v12, v[44:47]
	ds_write_b128 v12, v[48:51] offset:3600
	ds_write_b128 v12, v[8:11] offset:7200
	;; [unrolled: 1-line block ×5, first 2 shown]
	v_accvgpr_read_b32 v4, a133
	ds_write_b128 v4, v[32:35]
	ds_write_b128 v4, v[28:31] offset:3600
	ds_write_b128 v4, v[0:3] offset:7200
	;; [unrolled: 1-line block ×5, first 2 shown]
	s_waitcnt lgkmcnt(0)
	s_barrier
	ds_read_b128 v[12:15], v156
	ds_read_b128 v[20:23], v156 offset:10800
	ds_read_b128 v[24:27], v156 offset:21600
	;; [unrolled: 1-line block ×14, first 2 shown]
	s_waitcnt lgkmcnt(13)
	v_mul_f64 v[60:61], v[242:243], v[22:23]
	v_fmac_f64_e32 v[60:61], v[240:241], v[20:21]
	v_mul_f64 v[20:21], v[242:243], v[20:21]
	v_fma_f64 v[62:63], v[240:241], v[22:23], -v[20:21]
	s_waitcnt lgkmcnt(12)
	v_mul_f64 v[20:21], v[238:239], v[24:25]
	v_mul_f64 v[64:65], v[238:239], v[26:27]
	v_fma_f64 v[26:27], v[236:237], v[26:27], -v[20:21]
	s_waitcnt lgkmcnt(10)
	v_mul_f64 v[20:21], v[250:251], v[28:29]
	v_fma_f64 v[68:69], v[248:249], v[30:31], -v[20:21]
	s_waitcnt lgkmcnt(9)
	v_mul_f64 v[20:21], v[246:247], v[32:33]
	v_mul_f64 v[70:71], v[246:247], v[34:35]
	v_fma_f64 v[34:35], v[244:245], v[34:35], -v[20:21]
	s_waitcnt lgkmcnt(7)
	;; [unrolled: 7-line block ×3, first 2 shown]
	v_mul_f64 v[20:21], v[122:123], v[44:45]
	v_fma_f64 v[80:81], v[120:121], v[46:47], -v[20:21]
	s_waitcnt lgkmcnt(3)
	v_mul_f64 v[20:21], v[130:131], v[48:49]
	v_fmac_f64_e32 v[64:65], v[236:237], v[24:25]
	v_mul_f64 v[82:83], v[130:131], v[50:51]
	v_fma_f64 v[50:51], v[128:129], v[50:51], -v[20:21]
	s_waitcnt lgkmcnt(1)
	v_mul_f64 v[20:21], v[94:95], v[52:53]
	v_fma_f64 v[86:87], v[92:93], v[54:55], -v[20:21]
	s_waitcnt lgkmcnt(0)
	v_mul_f64 v[20:21], v[110:111], v[56:57]
	v_add_f64 v[22:23], v[60:61], v[64:65]
	v_mul_f64 v[88:89], v[110:111], v[58:59]
	v_fma_f64 v[58:59], v[108:109], v[58:59], -v[20:21]
	v_add_f64 v[20:21], v[12:13], v[60:61]
	v_fmac_f64_e32 v[12:13], -0.5, v[22:23]
	v_add_f64 v[22:23], v[62:63], -v[26:27]
	v_mul_f64 v[66:67], v[250:251], v[30:31]
	v_fma_f64 v[24:25], s[4:5], v[22:23], v[12:13]
	v_fmac_f64_e32 v[12:13], s[2:3], v[22:23]
	v_add_f64 v[22:23], v[14:15], v[62:63]
	v_fmac_f64_e32 v[66:67], v[248:249], v[28:29]
	v_fmac_f64_e32 v[70:71], v[244:245], v[32:33]
	v_add_f64 v[22:23], v[22:23], v[26:27]
	v_add_f64 v[26:27], v[62:63], v[26:27]
	v_fmac_f64_e32 v[14:15], -0.5, v[26:27]
	v_add_f64 v[28:29], v[60:61], -v[64:65]
	v_add_f64 v[30:31], v[66:67], v[70:71]
	v_fma_f64 v[26:27], s[2:3], v[28:29], v[14:15]
	v_fmac_f64_e32 v[14:15], s[4:5], v[28:29]
	v_add_f64 v[28:29], v[8:9], v[66:67]
	v_fmac_f64_e32 v[8:9], -0.5, v[30:31]
	v_add_f64 v[30:31], v[68:69], -v[34:35]
	v_mul_f64 v[72:73], v[136:137], v[38:39]
	v_fma_f64 v[32:33], s[4:5], v[30:31], v[8:9]
	v_fmac_f64_e32 v[8:9], s[2:3], v[30:31]
	v_add_f64 v[30:31], v[10:11], v[68:69]
	v_fmac_f64_e32 v[72:73], v[134:135], v[36:37]
	v_fmac_f64_e32 v[76:77], v[252:253], v[40:41]
	v_add_f64 v[30:31], v[30:31], v[34:35]
	v_add_f64 v[34:35], v[68:69], v[34:35]
	v_fmac_f64_e32 v[10:11], -0.5, v[34:35]
	v_add_f64 v[36:37], v[66:67], -v[70:71]
	v_add_f64 v[38:39], v[72:73], v[76:77]
	v_fma_f64 v[34:35], s[2:3], v[36:37], v[10:11]
	v_fmac_f64_e32 v[10:11], s[4:5], v[36:37]
	;; [unrolled: 16-line block ×4, first 2 shown]
	v_add_f64 v[52:53], v[16:17], v[84:85]
	v_fmac_f64_e32 v[16:17], -0.5, v[54:55]
	v_add_f64 v[54:55], v[86:87], -v[58:59]
	v_fma_f64 v[56:57], s[4:5], v[54:55], v[16:17]
	v_fmac_f64_e32 v[16:17], s[2:3], v[54:55]
	v_add_f64 v[54:55], v[18:19], v[86:87]
	v_add_f64 v[54:55], v[54:55], v[58:59]
	;; [unrolled: 1-line block ×4, first 2 shown]
	v_fmac_f64_e32 v[18:19], -0.5, v[58:59]
	v_add_f64 v[60:61], v[84:85], -v[88:89]
	v_add_f64 v[28:29], v[28:29], v[70:71]
	v_add_f64 v[36:37], v[36:37], v[76:77]
	;; [unrolled: 1-line block ×4, first 2 shown]
	v_fma_f64 v[58:59], s[2:3], v[60:61], v[18:19]
	v_fmac_f64_e32 v[18:19], s[4:5], v[60:61]
	ds_write_b128 v156, v[20:23]
	ds_write_b128 v156, v[24:27] offset:10800
	ds_write_b128 v156, v[12:15] offset:21600
	;; [unrolled: 1-line block ×14, first 2 shown]
	s_waitcnt lgkmcnt(0)
	s_barrier
	ds_read_b128 v[0:3], v156
	v_accvgpr_read_b32 v6, a8
	v_accvgpr_read_b32 v8, a10
	;; [unrolled: 1-line block ×4, first 2 shown]
	s_waitcnt lgkmcnt(0)
	v_mul_f64 v[4:5], v[8:9], v[2:3]
	v_fmac_f64_e32 v[4:5], v[6:7], v[0:1]
	s_mov_b32 s2, 0xc0898b71
	v_mul_f64 v[0:1], v[8:9], v[0:1]
	s_mov_b32 s3, 0x3f402e85
	v_fma_f64 v[0:1], v[6:7], v[2:3], -v[0:1]
	v_mul_f64 v[6:7], v[0:1], s[2:3]
	v_mad_u64_u32 v[0:1], s[4:5], s0, v112, 0
	v_mov_b32_e32 v2, v1
	v_mad_u64_u32 v[2:3], s[4:5], s1, v112, v[2:3]
	v_mov_b32_e32 v1, v2
	v_accvgpr_read_b32 v3, a1
	v_accvgpr_read_b32 v9, a3
	;; [unrolled: 1-line block ×4, first 2 shown]
	v_lshl_add_u64 v[2:3], v[8:9], 4, v[2:3]
	v_lshl_add_u64 v[8:9], v[0:1], 4, v[2:3]
	ds_read_b128 v[0:3], v156 offset:10800
	v_accvgpr_read_b32 v10, a16
	v_mul_f64 v[4:5], v[4:5], s[2:3]
	v_accvgpr_read_b32 v12, a18
	v_accvgpr_read_b32 v13, a19
	global_store_dwordx4 v[8:9], v[4:7], off
	v_accvgpr_read_b32 v11, a17
	v_mad_u64_u32 v[8:9], s[4:5], s0, v158, v[8:9]
	s_waitcnt lgkmcnt(0)
	v_mul_f64 v[4:5], v[12:13], v[2:3]
	v_fmac_f64_e32 v[4:5], v[10:11], v[0:1]
	v_mul_f64 v[0:1], v[12:13], v[0:1]
	v_fma_f64 v[0:1], v[10:11], v[2:3], -v[0:1]
	v_mul_f64 v[6:7], v[0:1], s[2:3]
	ds_read_b128 v[0:3], v156 offset:21600
	s_mul_i32 s4, s1, 0x2a30
	v_accvgpr_read_b32 v10, a28
	v_mul_f64 v[4:5], v[4:5], s[2:3]
	v_add_u32_e32 v9, s4, v9
	v_accvgpr_read_b32 v12, a30
	v_accvgpr_read_b32 v13, a31
	global_store_dwordx4 v[8:9], v[4:7], off
	v_accvgpr_read_b32 v11, a29
	v_mad_u64_u32 v[8:9], s[6:7], s0, v158, v[8:9]
	s_waitcnt lgkmcnt(0)
	v_mul_f64 v[4:5], v[12:13], v[2:3]
	v_fmac_f64_e32 v[4:5], v[10:11], v[0:1]
	v_mul_f64 v[0:1], v[12:13], v[0:1]
	v_fma_f64 v[0:1], v[10:11], v[2:3], -v[0:1]
	v_mul_f64 v[6:7], v[0:1], s[2:3]
	ds_read_b128 v[0:3], v156 offset:2160
	v_accvgpr_read_b32 v10, a12
	v_mul_f64 v[4:5], v[4:5], s[2:3]
	v_add_u32_e32 v9, s4, v9
	v_accvgpr_read_b32 v12, a14
	v_accvgpr_read_b32 v13, a15
	global_store_dwordx4 v[8:9], v[4:7], off
	v_accvgpr_read_b32 v11, a13
	v_mov_b32_e32 v14, 0xffffb410
	s_waitcnt lgkmcnt(0)
	v_mul_f64 v[4:5], v[12:13], v[2:3]
	v_fmac_f64_e32 v[4:5], v[10:11], v[0:1]
	v_mul_f64 v[0:1], v[12:13], v[0:1]
	v_fma_f64 v[0:1], v[10:11], v[2:3], -v[0:1]
	v_mul_f64 v[6:7], v[0:1], s[2:3]
	ds_read_b128 v[0:3], v156 offset:12960
	s_mulk_i32 s1, 0xb410
	v_mad_u64_u32 v[8:9], s[6:7], s0, v14, v[8:9]
	s_sub_i32 s1, s1, s0
	v_accvgpr_read_b32 v10, a24
	v_mul_f64 v[4:5], v[4:5], s[2:3]
	v_add_u32_e32 v9, s1, v9
	v_accvgpr_read_b32 v12, a26
	v_accvgpr_read_b32 v13, a27
	global_store_dwordx4 v[8:9], v[4:7], off
	v_accvgpr_read_b32 v11, a25
	v_mad_u64_u32 v[8:9], s[6:7], s0, v158, v[8:9]
	s_waitcnt lgkmcnt(0)
	v_mul_f64 v[4:5], v[12:13], v[2:3]
	v_fmac_f64_e32 v[4:5], v[10:11], v[0:1]
	v_mul_f64 v[0:1], v[12:13], v[0:1]
	v_fma_f64 v[0:1], v[10:11], v[2:3], -v[0:1]
	v_mul_f64 v[6:7], v[0:1], s[2:3]
	ds_read_b128 v[0:3], v156 offset:23760
	v_accvgpr_read_b32 v10, a20
	v_mul_f64 v[4:5], v[4:5], s[2:3]
	v_add_u32_e32 v9, s4, v9
	v_accvgpr_read_b32 v12, a22
	v_accvgpr_read_b32 v13, a23
	global_store_dwordx4 v[8:9], v[4:7], off
	v_accvgpr_read_b32 v11, a21
	v_mad_u64_u32 v[8:9], s[6:7], s0, v158, v[8:9]
	s_waitcnt lgkmcnt(0)
	v_mul_f64 v[4:5], v[12:13], v[2:3]
	v_fmac_f64_e32 v[4:5], v[10:11], v[0:1]
	v_mul_f64 v[0:1], v[12:13], v[0:1]
	v_fma_f64 v[0:1], v[10:11], v[2:3], -v[0:1]
	v_mul_f64 v[6:7], v[0:1], s[2:3]
	ds_read_b128 v[0:3], v156 offset:4320
	;; [unrolled: 15-line block ×5, first 2 shown]
	v_accvgpr_read_b32 v10, a52
	v_mul_f64 v[4:5], v[4:5], s[2:3]
	v_add_u32_e32 v9, s4, v9
	v_accvgpr_read_b32 v12, a54
	v_accvgpr_read_b32 v13, a55
	global_store_dwordx4 v[8:9], v[4:7], off
	v_accvgpr_read_b32 v11, a53
	v_mov_b32_e32 v14, 0xffffb410
	s_waitcnt lgkmcnt(0)
	v_mul_f64 v[4:5], v[12:13], v[2:3]
	v_fmac_f64_e32 v[4:5], v[10:11], v[0:1]
	v_mul_f64 v[0:1], v[12:13], v[0:1]
	v_fma_f64 v[0:1], v[10:11], v[2:3], -v[0:1]
	v_mul_f64 v[6:7], v[0:1], s[2:3]
	ds_read_b128 v[0:3], v156 offset:17280
	v_mad_u64_u32 v[8:9], s[6:7], s0, v14, v[8:9]
	v_accvgpr_read_b32 v10, a56
	v_mul_f64 v[4:5], v[4:5], s[2:3]
	v_add_u32_e32 v9, s1, v9
	v_accvgpr_read_b32 v12, a58
	v_accvgpr_read_b32 v13, a59
	global_store_dwordx4 v[8:9], v[4:7], off
	v_accvgpr_read_b32 v11, a57
	v_mad_u64_u32 v[8:9], s[6:7], s0, v158, v[8:9]
	s_waitcnt lgkmcnt(0)
	v_mul_f64 v[4:5], v[12:13], v[2:3]
	v_fmac_f64_e32 v[4:5], v[10:11], v[0:1]
	v_mul_f64 v[0:1], v[12:13], v[0:1]
	v_fma_f64 v[0:1], v[10:11], v[2:3], -v[0:1]
	v_mul_f64 v[6:7], v[0:1], s[2:3]
	ds_read_b128 v[0:3], v156 offset:28080
	v_accvgpr_read_b32 v10, a60
	v_mul_f64 v[4:5], v[4:5], s[2:3]
	v_add_u32_e32 v9, s4, v9
	v_accvgpr_read_b32 v12, a62
	v_accvgpr_read_b32 v13, a63
	global_store_dwordx4 v[8:9], v[4:7], off
	v_accvgpr_read_b32 v11, a61
	s_waitcnt lgkmcnt(0)
	v_mul_f64 v[4:5], v[12:13], v[2:3]
	v_fmac_f64_e32 v[4:5], v[10:11], v[0:1]
	v_mul_f64 v[0:1], v[12:13], v[0:1]
	v_fma_f64 v[0:1], v[10:11], v[2:3], -v[0:1]
	v_mul_f64 v[6:7], v[0:1], s[2:3]
	v_mad_u64_u32 v[0:1], s[6:7], s0, v158, v[8:9]
	v_mul_f64 v[4:5], v[4:5], s[2:3]
	v_add_u32_e32 v1, s4, v1
	global_store_dwordx4 v[0:1], v[4:7], off
	ds_read_b128 v[2:5], v156 offset:8640
	v_accvgpr_read_b32 v8, a32
	v_accvgpr_read_b32 v10, a34
	;; [unrolled: 1-line block ×4, first 2 shown]
	s_waitcnt lgkmcnt(0)
	v_mul_f64 v[6:7], v[10:11], v[4:5]
	v_fmac_f64_e32 v[6:7], v[8:9], v[2:3]
	v_mul_f64 v[2:3], v[10:11], v[2:3]
	v_fma_f64 v[2:3], v[8:9], v[4:5], -v[2:3]
	v_mul_f64 v[8:9], v[2:3], s[2:3]
	ds_read_b128 v[2:5], v156 offset:19440
	v_mad_u64_u32 v[0:1], s[6:7], s0, v14, v[0:1]
	v_mul_f64 v[6:7], v[6:7], s[2:3]
	v_add_u32_e32 v1, s1, v1
	global_store_dwordx4 v[0:1], v[6:9], off
	v_accvgpr_read_b32 v11, a7
	v_accvgpr_read_b32 v10, a6
	;; [unrolled: 1-line block ×4, first 2 shown]
	s_waitcnt lgkmcnt(0)
	v_mul_f64 v[6:7], v[10:11], v[4:5]
	v_fmac_f64_e32 v[6:7], v[8:9], v[2:3]
	v_mul_f64 v[2:3], v[10:11], v[2:3]
	v_fma_f64 v[2:3], v[8:9], v[4:5], -v[2:3]
	v_mul_f64 v[8:9], v[2:3], s[2:3]
	v_mad_u64_u32 v[10:11], s[6:7], s0, v158, v[0:1]
	ds_read_b128 v[0:3], v156 offset:30240
	v_mul_f64 v[6:7], v[6:7], s[2:3]
	v_add_u32_e32 v11, s4, v11
	global_store_dwordx4 v[10:11], v[6:9], off
	s_nop 1
	v_accvgpr_read_b32 v6, a36
	v_accvgpr_read_b32 v8, a38
	;; [unrolled: 1-line block ×4, first 2 shown]
	s_waitcnt lgkmcnt(0)
	v_mul_f64 v[4:5], v[8:9], v[2:3]
	v_fmac_f64_e32 v[4:5], v[6:7], v[0:1]
	v_mul_f64 v[0:1], v[8:9], v[0:1]
	v_fma_f64 v[0:1], v[6:7], v[2:3], -v[0:1]
	v_mul_f64 v[6:7], v[0:1], s[2:3]
	v_mad_u64_u32 v[0:1], s[0:1], s0, v158, v[10:11]
	v_mul_f64 v[4:5], v[4:5], s[2:3]
	v_add_u32_e32 v1, s4, v1
	global_store_dwordx4 v[0:1], v[4:7], off
.LBB0_2:
	s_endpgm
	.section	.rodata,"a",@progbits
	.p2align	6, 0x0
	.amdhsa_kernel bluestein_single_fwd_len2025_dim1_dp_op_CI_CI
		.amdhsa_group_segment_fixed_size 32400
		.amdhsa_private_segment_fixed_size 0
		.amdhsa_kernarg_size 104
		.amdhsa_user_sgpr_count 2
		.amdhsa_user_sgpr_dispatch_ptr 0
		.amdhsa_user_sgpr_queue_ptr 0
		.amdhsa_user_sgpr_kernarg_segment_ptr 1
		.amdhsa_user_sgpr_dispatch_id 0
		.amdhsa_user_sgpr_kernarg_preload_length 0
		.amdhsa_user_sgpr_kernarg_preload_offset 0
		.amdhsa_user_sgpr_private_segment_size 0
		.amdhsa_uses_dynamic_stack 0
		.amdhsa_enable_private_segment 0
		.amdhsa_system_sgpr_workgroup_id_x 1
		.amdhsa_system_sgpr_workgroup_id_y 0
		.amdhsa_system_sgpr_workgroup_id_z 0
		.amdhsa_system_sgpr_workgroup_info 0
		.amdhsa_system_vgpr_workitem_id 0
		.amdhsa_next_free_vgpr 390
		.amdhsa_next_free_sgpr 24
		.amdhsa_accum_offset 256
		.amdhsa_reserve_vcc 1
		.amdhsa_float_round_mode_32 0
		.amdhsa_float_round_mode_16_64 0
		.amdhsa_float_denorm_mode_32 3
		.amdhsa_float_denorm_mode_16_64 3
		.amdhsa_dx10_clamp 1
		.amdhsa_ieee_mode 1
		.amdhsa_fp16_overflow 0
		.amdhsa_tg_split 0
		.amdhsa_exception_fp_ieee_invalid_op 0
		.amdhsa_exception_fp_denorm_src 0
		.amdhsa_exception_fp_ieee_div_zero 0
		.amdhsa_exception_fp_ieee_overflow 0
		.amdhsa_exception_fp_ieee_underflow 0
		.amdhsa_exception_fp_ieee_inexact 0
		.amdhsa_exception_int_div_zero 0
	.end_amdhsa_kernel
	.text
.Lfunc_end0:
	.size	bluestein_single_fwd_len2025_dim1_dp_op_CI_CI, .Lfunc_end0-bluestein_single_fwd_len2025_dim1_dp_op_CI_CI
                                        ; -- End function
	.section	.AMDGPU.csdata,"",@progbits
; Kernel info:
; codeLenInByte = 22120
; NumSgprs: 30
; NumVgprs: 256
; NumAgprs: 134
; TotalNumVgprs: 390
; ScratchSize: 0
; MemoryBound: 0
; FloatMode: 240
; IeeeMode: 1
; LDSByteSize: 32400 bytes/workgroup (compile time only)
; SGPRBlocks: 3
; VGPRBlocks: 48
; NumSGPRsForWavesPerEU: 30
; NumVGPRsForWavesPerEU: 390
; AccumOffset: 256
; Occupancy: 1
; WaveLimiterHint : 1
; COMPUTE_PGM_RSRC2:SCRATCH_EN: 0
; COMPUTE_PGM_RSRC2:USER_SGPR: 2
; COMPUTE_PGM_RSRC2:TRAP_HANDLER: 0
; COMPUTE_PGM_RSRC2:TGID_X_EN: 1
; COMPUTE_PGM_RSRC2:TGID_Y_EN: 0
; COMPUTE_PGM_RSRC2:TGID_Z_EN: 0
; COMPUTE_PGM_RSRC2:TIDIG_COMP_CNT: 0
; COMPUTE_PGM_RSRC3_GFX90A:ACCUM_OFFSET: 63
; COMPUTE_PGM_RSRC3_GFX90A:TG_SPLIT: 0
	.text
	.p2alignl 6, 3212836864
	.fill 256, 4, 3212836864
	.type	__hip_cuid_bd41413bd692d23,@object ; @__hip_cuid_bd41413bd692d23
	.section	.bss,"aw",@nobits
	.globl	__hip_cuid_bd41413bd692d23
__hip_cuid_bd41413bd692d23:
	.byte	0                               ; 0x0
	.size	__hip_cuid_bd41413bd692d23, 1

	.ident	"AMD clang version 19.0.0git (https://github.com/RadeonOpenCompute/llvm-project roc-6.4.0 25133 c7fe45cf4b819c5991fe208aaa96edf142730f1d)"
	.section	".note.GNU-stack","",@progbits
	.addrsig
	.addrsig_sym __hip_cuid_bd41413bd692d23
	.amdgpu_metadata
---
amdhsa.kernels:
  - .agpr_count:     134
    .args:
      - .actual_access:  read_only
        .address_space:  global
        .offset:         0
        .size:           8
        .value_kind:     global_buffer
      - .actual_access:  read_only
        .address_space:  global
        .offset:         8
        .size:           8
        .value_kind:     global_buffer
      - .actual_access:  read_only
        .address_space:  global
        .offset:         16
        .size:           8
        .value_kind:     global_buffer
      - .actual_access:  read_only
        .address_space:  global
        .offset:         24
        .size:           8
        .value_kind:     global_buffer
      - .actual_access:  read_only
        .address_space:  global
        .offset:         32
        .size:           8
        .value_kind:     global_buffer
      - .offset:         40
        .size:           8
        .value_kind:     by_value
      - .address_space:  global
        .offset:         48
        .size:           8
        .value_kind:     global_buffer
      - .address_space:  global
        .offset:         56
        .size:           8
        .value_kind:     global_buffer
      - .address_space:  global
        .offset:         64
        .size:           8
        .value_kind:     global_buffer
      - .address_space:  global
        .offset:         72
        .size:           8
        .value_kind:     global_buffer
      - .offset:         80
        .size:           4
        .value_kind:     by_value
      - .address_space:  global
        .offset:         88
        .size:           8
        .value_kind:     global_buffer
      - .address_space:  global
        .offset:         96
        .size:           8
        .value_kind:     global_buffer
    .group_segment_fixed_size: 32400
    .kernarg_segment_align: 8
    .kernarg_segment_size: 104
    .language:       OpenCL C
    .language_version:
      - 2
      - 0
    .max_flat_workgroup_size: 135
    .name:           bluestein_single_fwd_len2025_dim1_dp_op_CI_CI
    .private_segment_fixed_size: 0
    .sgpr_count:     30
    .sgpr_spill_count: 0
    .symbol:         bluestein_single_fwd_len2025_dim1_dp_op_CI_CI.kd
    .uniform_work_group_size: 1
    .uses_dynamic_stack: false
    .vgpr_count:     390
    .vgpr_spill_count: 0
    .wavefront_size: 64
amdhsa.target:   amdgcn-amd-amdhsa--gfx950
amdhsa.version:
  - 1
  - 2
...

	.end_amdgpu_metadata
